;; amdgpu-corpus repo=ROCm/aiter kind=harvested arch=n/a opt=n/a

/root/src/amdgpu-assembly/repos/ROCm__aiter/hsa/gfx942/topksoftmax/topksoftmax_12x128x6.co:	file format elf64-amdgpu

Disassembly of section .text:

0000000000001c00 <_ZN5aiter20topksoftmax_12x128x6E>:
	s_and_b32 s1, s1, 0xffff                                   // 000000001C00: 8601FF01 0000FFFF
	s_load_dwordx2 s[4:5], s[0:1], 0x0                         // 000000001C08: C0060100 00000000
	s_load_dwordx2 s[8:9], s[0:1], 0x10                        // 000000001C10: C0060200 00000010
	s_load_dwordx2 s[12:13], s[0:1], 0x20                      // 000000001C18: C0060300 00000020
	s_load_dword s16, s[0:1], 0x30                             // 000000001C20: C0020400 00000030
	s_load_dword s17, s[0:1], 0x40                             // 000000001C28: C0020440 00000040
	s_load_dword s18, s[0:1], 0x50                             // 000000001C30: C0020480 00000050
	s_load_dword s68, s[0:1], 0x60                             // 000000001C38: C0021100 00000060
	s_load_dword s69, s[0:1], 0x70                             // 000000001C40: C0021140 00000070
	v_lshrrev_b32_e32 v1, 10, v0                               // 000000001C48: 2002008A
	v_lshrrev_b32_e32 v2, 10, v1                               // 000000001C4C: 2004028A
	v_and_b32_e32 v2, 0x3ff, v2                                // 000000001C50: 260404FF 000003FF
	v_and_b32_e32 v1, 0x3ff, v1                                // 000000001C58: 260202FF 000003FF
	v_and_b32_e32 v0, 0x3ff, v0                                // 000000001C60: 260000FF 000003FF
	v_lshrrev_b32_e32 v3, 6, v0                                // 000000001C68: 20060086
	v_and_b32_e32 v0, 63, v0                                   // 000000001C6C: 260000BF
	s_mov_b32 s19, s2                                          // 000000001C70: BE930002
	v_readfirstlane_b32 s66, v3                                // 000000001C74: 7E840503
	s_waitcnt lgkmcnt(0)                                       // 000000001C78: BF8CC07F
	s_mov_b32 s6, -16                                          // 000000001C7C: BE8600D0
	s_mov_b32 s10, -16                                         // 000000001C80: BE8A00D0
	s_mov_b32 s14, -16                                         // 000000001C84: BE8E00D0
	s_mov_b32 s7, 0x20000                                      // 000000001C88: BE8700FF 00020000
	s_mov_b32 s11, 0x20000                                     // 000000001C90: BE8B00FF 00020000
	s_mov_b32 s15, 0x20000                                     // 000000001C98: BE8F00FF 00020000
	s_and_b32 s5, s5, 0xffff                                   // 000000001CA0: 8605FF05 0000FFFF
	s_and_b32 s9, s9, 0xffff                                   // 000000001CA8: 8609FF09 0000FFFF
	s_and_b32 s13, s13, 0xffff                                 // 000000001CB0: 860DFF0D 0000FFFF
	s_or_b32 s5, s5, 0x40000                                   // 000000001CB8: 8705FF05 00040000
	s_or_b32 s9, s9, 0x40000                                   // 000000001CC0: 8709FF09 00040000
	s_or_b32 s13, s13, 0x40000                                 // 000000001CC8: 870DFF0D 00040000
	s_mul_i32 s20, s16, s17                                    // 000000001CD0: 92141110
	s_mul_i32 s20, s20, 4                                      // 000000001CD4: 92148414
	s_mov_b32 s14, s20                                         // 000000001CD8: BE8E0014
	v_lshlrev_b32_e32 v8, 2, v0                                // 000000001CDC: 24100082
	s_mul_i32 s20, s17, 4                                      // 000000001CE0: 92148411
	s_mul_i32 s21, s19, 12                                     // 000000001CE4: 92158C13
	s_add_i32 s21, s21, s66                                    // 000000001CE8: 81154215
	s_mul_i32 s22, s20, s21                                    // 000000001CEC: 92161514
	v_add_u32_e32 v8, s22, v8                                  // 000000001CF0: 68101016
	s_mul_i32 s23, s20, 4                                      // 000000001CF4: 92178414
	v_add_u32_e32 v9, s23, v8                                  // 000000001CF8: 68121017
	v_add_u32_e32 v10, s23, v9                                 // 000000001CFC: 68141217
	buffer_load_dword v17, v8, s[12:15], 0 offen               // 000000001D00: E0501000 80031108
	buffer_load_dword v18, v8, s[12:15], 0 offen offset:256    // 000000001D08: E0501100 80031208
	buffer_load_dword v19, v9, s[12:15], 0 offen               // 000000001D10: E0501000 80031309
	buffer_load_dword v20, v9, s[12:15], 0 offen offset:256    // 000000001D18: E0501100 80031409
	buffer_load_dword v21, v10, s[12:15], 0 offen              // 000000001D20: E0501000 8003150A
	buffer_load_dword v22, v10, s[12:15], 0 offen offset:256   // 000000001D28: E0501100 8003160A
	v_mov_b32_e32 v29, 0                                       // 000000001D30: 7E3A0280
	v_mov_b32_e32 v30, 0                                       // 000000001D34: 7E3C0280
	v_mov_b32_e32 v31, 0                                       // 000000001D38: 7E3E0280
	v_mov_b32_e32 v32, 0                                       // 000000001D3C: 7E400280
	v_mov_b32_e32 v33, 0                                       // 000000001D40: 7E420280
	v_mov_b32_e32 v34, 0                                       // 000000001D44: 7E440280
	v_mov_b32_e32 v35, 0                                       // 000000001D48: 7E460280
	v_mov_b32_e32 v36, 0                                       // 000000001D4C: 7E480280
	v_mov_b32_e32 v37, 0                                       // 000000001D50: 7E4A0280
	v_mov_b32_e32 v38, 0                                       // 000000001D54: 7E4C0280
	v_mov_b32_e32 v39, 0                                       // 000000001D58: 7E4E0280
	v_mov_b32_e32 v40, 0                                       // 000000001D5C: 7E500280
	v_mov_b32_e32 v23, 0                                       // 000000001D60: 7E2E0280
	v_mov_b32_e32 v24, 0                                       // 000000001D64: 7E300280
	v_mov_b32_e32 v25, 0                                       // 000000001D68: 7E320280
	v_mov_b32_e32 v26, 0                                       // 000000001D6C: 7E340280
	v_mov_b32_e32 v27, 0                                       // 000000001D70: 7E360280
	v_mov_b32_e32 v28, 0                                       // 000000001D74: 7E380280
	v_mov_b32_e32 v41, 0                                       // 000000001D78: 7E520280
	v_mov_b32_e32 v42, 0                                       // 000000001D7C: 7E540280
	v_mov_b32_e32 v43, 0                                       // 000000001D80: 7E560280
	s_mov_b32 s18, 6                                           // 000000001D84: BE920086
	v_lshlrev_b32_e32 v11, 2, v0                               // 000000001D88: 24160082
	s_mov_b32 s20, s69                                         // 000000001D8C: BE940045
	s_mul_i32 s21, s19, 12                                     // 000000001D90: 92158C13
	s_add_i32 s21, s21, s66                                    // 000000001D94: 81154215
	s_mul_i32 s22, s20, s21                                    // 000000001D98: 92161514
	v_add_u32_e32 v11, s22, v11                                // 000000001D9C: 68161616
	s_mul_i32 s23, s20, 4                                      // 000000001DA0: 92178414
	v_add_u32_e32 v12, s23, v11                                // 000000001DA4: 68181617
	v_add_u32_e32 v13, s23, v12                                // 000000001DA8: 681A1817
	v_mov_b32_e32 v14, v11                                     // 000000001DAC: 7E1C030B
	v_mov_b32_e32 v15, v12                                     // 000000001DB0: 7E1E030C
	v_mov_b32_e32 v16, v13                                     // 000000001DB4: 7E20030D
	s_mul_i32 s20, s16, s69                                    // 000000001DB8: 92144510
	s_mov_b32 s6, s20                                          // 000000001DBC: BE860014
	s_mov_b32 s10, s20                                         // 000000001DC0: BE8A0014
	s_mov_b32 s67, 0x3fb8aa3b                                  // 000000001DC4: BEC300FF 3FB8AA3B
	s_mov_b32 s48, 0                                           // 000000001DCC: BEB00080
	s_mov_b32 s49, 0                                           // 000000001DD0: BEB10080
	s_mov_b32 s50, 0                                           // 000000001DD4: BEB20080
	s_mov_b32 s51, 0                                           // 000000001DD8: BEB30080
	s_mov_b32 s52, 0                                           // 000000001DDC: BEB40080
	s_mov_b32 s53, 0                                           // 000000001DE0: BEB50080
	s_mov_b32 s54, 0                                           // 000000001DE4: BEB60080
	s_mov_b32 s55, 0                                           // 000000001DE8: BEB70080
	s_mov_b32 s56, 0                                           // 000000001DEC: BEB80080
	s_mov_b32 s57, 0                                           // 000000001DF0: BEB90080
	s_mov_b32 s58, 0                                           // 000000001DF4: BEBA0080
	s_mov_b32 s59, 0                                           // 000000001DF8: BEBB0080
	s_mov_b32 s60, 0                                           // 000000001DFC: BEBC0080
	s_mov_b32 s61, 0                                           // 000000001E00: BEBD0080
	s_mov_b32 s62, 0                                           // 000000001E04: BEBE0080
	s_mov_b32 s63, 0                                           // 000000001E08: BEBF0080
	s_mov_b32 s64, 0                                           // 000000001E0C: BEC00080
	s_mov_b32 s65, 0                                           // 000000001E10: BEC10080
	s_waitcnt vmcnt(0) expcnt(0) lgkmcnt(0)                    // 000000001E14: BF8C0000
	v_mul_f32_e64 v17, v17, s67                                // 000000001E18: D1050011 00008711
	v_exp_f32_e32 v17, v17                                     // 000000001E20: 7E224111
	v_mul_f32_e64 v18, v18, s67                                // 000000001E24: D1050012 00008712
	v_exp_f32_e32 v18, v18                                     // 000000001E2C: 7E244112
	v_mul_f32_e64 v19, v19, s67                                // 000000001E30: D1050013 00008713
	v_exp_f32_e32 v19, v19                                     // 000000001E38: 7E264113
	v_mul_f32_e64 v20, v20, s67                                // 000000001E3C: D1050014 00008714
	v_exp_f32_e32 v20, v20                                     // 000000001E44: 7E284114
	v_mul_f32_e64 v21, v21, s67                                // 000000001E48: D1050015 00008715
	v_exp_f32_e32 v21, v21                                     // 000000001E50: 7E2A4115
	v_mul_f32_e64 v22, v22, s67                                // 000000001E54: D1050016 00008716
	v_exp_f32_e32 v22, v22                                     // 000000001E5C: 7E2C4116
	v_add_f32_e32 v29, v29, v17                                // 000000001E60: 023A231D
	v_add_f32_e32 v29, v29, v18                                // 000000001E64: 023A251D
	v_add_f32_e32 v31, v31, v19                                // 000000001E68: 023E271F
	v_add_f32_e32 v31, v31, v20                                // 000000001E6C: 023E291F
	v_add_f32_e32 v33, v33, v21                                // 000000001E70: 02422B21
	v_add_f32_e32 v33, v33, v22                                // 000000001E74: 02422D21
	v_add_f32_dpp v4, v29, v29 quad_perm:[1,0,3,2] row_mask:0xf bank_mask:0xf// 000000001E78: 02083AFA FF00B11D
	v_add_f32_dpp v5, v31, v31 quad_perm:[1,0,3,2] row_mask:0xf bank_mask:0xf// 000000001E80: 020A3EFA FF00B11F
	v_add_f32_dpp v6, v33, v33 quad_perm:[1,0,3,2] row_mask:0xf bank_mask:0xf// 000000001E88: 020C42FA FF00B121
	v_add_f32_dpp v4, v4, v4 quad_perm:[2,3,0,1] row_mask:0xf bank_mask:0xf// 000000001E90: 020808FA FF004E04
	v_add_f32_dpp v5, v5, v5 quad_perm:[2,3,0,1] row_mask:0xf bank_mask:0xf// 000000001E98: 020A0AFA FF004E05
	v_add_f32_dpp v6, v6, v6 quad_perm:[2,3,0,1] row_mask:0xf bank_mask:0xf// 000000001EA0: 020C0CFA FF004E06
	v_add_f32_dpp v4, v4, v4 row_shr:4 row_mask:0xf bank_mask:0xf// 000000001EA8: 020808FA FF011404
	v_add_f32_dpp v5, v5, v5 row_shr:4 row_mask:0xf bank_mask:0xf// 000000001EB0: 020A0AFA FF011405
	v_add_f32_dpp v6, v6, v6 row_shr:4 row_mask:0xf bank_mask:0xf// 000000001EB8: 020C0CFA FF011406
	v_add_f32_dpp v4, v4, v4 row_shr:8 row_mask:0xf bank_mask:0xf// 000000001EC0: 020808FA FF011804
	v_add_f32_dpp v5, v5, v5 row_shr:8 row_mask:0xf bank_mask:0xf// 000000001EC8: 020A0AFA FF011805
	v_add_f32_dpp v6, v6, v6 row_shr:8 row_mask:0xf bank_mask:0xf// 000000001ED0: 020C0CFA FF011806
	v_add_f32_dpp v4, v4, v4 row_bcast:15 row_mask:0xf bank_mask:0xf// 000000001ED8: 020808FA FF014204
	v_add_f32_dpp v5, v5, v5 row_bcast:15 row_mask:0xf bank_mask:0xf// 000000001EE0: 020A0AFA FF014205
	v_add_f32_dpp v6, v6, v6 row_bcast:15 row_mask:0xf bank_mask:0xf// 000000001EE8: 020C0CFA FF014206
	v_add_f32_dpp v4, v4, v4 row_bcast:31 row_mask:0xf bank_mask:0xf// 000000001EF0: 020808FA FF014304
	v_add_f32_dpp v5, v5, v5 row_bcast:31 row_mask:0xf bank_mask:0xf// 000000001EF8: 020A0AFA FF014305
	v_add_f32_dpp v6, v6, v6 row_bcast:31 row_mask:0xf bank_mask:0xf// 000000001F00: 020C0CFA FF014306
	v_readlane_b32 s20, v4, 63                                 // 000000001F08: D2890014 00017F04
	v_mov_b32_e32 v30, s20                                     // 000000001F10: 7E3C0214
	v_readlane_b32 s21, v5, 63                                 // 000000001F14: D2890015 00017F05
	v_mov_b32_e32 v32, s21                                     // 000000001F1C: 7E400215
	v_readlane_b32 s22, v6, 63                                 // 000000001F20: D2890016 00017F06
	v_mov_b32_e32 v34, s22                                     // 000000001F28: 7E440216
	v_rcp_f32_e32 v29, v30                                     // 000000001F2C: 7E3A451E
	v_rcp_f32_e32 v31, v32                                     // 000000001F30: 7E3E4520
	v_rcp_f32_e32 v33, v34                                     // 000000001F34: 7E424522
	v_mul_f32_e32 v17, v17, v29                                // 000000001F38: 0A223B11
	v_mul_f32_e32 v18, v18, v29                                // 000000001F3C: 0A243B12
	v_mul_f32_e32 v19, v19, v31                                // 000000001F40: 0A263F13
	v_mul_f32_e32 v20, v20, v31                                // 000000001F44: 0A283F14
	v_mul_f32_e32 v21, v21, v33                                // 000000001F48: 0A2A4315
	v_mul_f32_e32 v22, v22, v33                                // 000000001F4C: 0A2C4316
	s_cmp_eq_u32 s68, 0                                        // 000000001F50: BF068044
	s_cbranch_scc0 label_03FC                                  // 000000001F54: BF840326
	v_max_f32_e32 v35, v17, v18                                // 000000001F58: 16462511
	v_max_f32_e32 v36, v19, v20                                // 000000001F5C: 16482913
	v_max_f32_e32 v37, v21, v22                                // 000000001F60: 164A2D15
	v_max_f32_dpp v4, v35, v35 quad_perm:[1,0,3,2] row_mask:0xf bank_mask:0xf// 000000001F64: 160846FA FF00B123
	v_max_f32_dpp v5, v36, v36 quad_perm:[1,0,3,2] row_mask:0xf bank_mask:0xf// 000000001F6C: 160A48FA FF00B124
	v_max_f32_dpp v6, v37, v37 quad_perm:[1,0,3,2] row_mask:0xf bank_mask:0xf// 000000001F74: 160C4AFA FF00B125
	v_max_f32_dpp v4, v4, v4 quad_perm:[2,3,0,1] row_mask:0xf bank_mask:0xf// 000000001F7C: 160808FA FF004E04
	v_max_f32_dpp v5, v5, v5 quad_perm:[2,3,0,1] row_mask:0xf bank_mask:0xf// 000000001F84: 160A0AFA FF004E05
	v_max_f32_dpp v6, v6, v6 quad_perm:[2,3,0,1] row_mask:0xf bank_mask:0xf// 000000001F8C: 160C0CFA FF004E06
	v_max_f32_dpp v4, v4, v4 row_shr:4 row_mask:0xf bank_mask:0xf// 000000001F94: 160808FA FF011404
	v_max_f32_dpp v5, v5, v5 row_shr:4 row_mask:0xf bank_mask:0xf// 000000001F9C: 160A0AFA FF011405
	v_max_f32_dpp v6, v6, v6 row_shr:4 row_mask:0xf bank_mask:0xf// 000000001FA4: 160C0CFA FF011406
	v_max_f32_dpp v4, v4, v4 row_shr:8 row_mask:0xf bank_mask:0xf// 000000001FAC: 160808FA FF011804
	v_max_f32_dpp v5, v5, v5 row_shr:8 row_mask:0xf bank_mask:0xf// 000000001FB4: 160A0AFA FF011805
	v_max_f32_dpp v6, v6, v6 row_shr:8 row_mask:0xf bank_mask:0xf// 000000001FBC: 160C0CFA FF011806
	v_max_f32_dpp v4, v4, v4 row_bcast:15 row_mask:0xf bank_mask:0xf// 000000001FC4: 160808FA FF014204
	v_max_f32_dpp v5, v5, v5 row_bcast:15 row_mask:0xf bank_mask:0xf// 000000001FCC: 160A0AFA FF014205
	v_max_f32_dpp v6, v6, v6 row_bcast:15 row_mask:0xf bank_mask:0xf// 000000001FD4: 160C0CFA FF014206
	v_max_f32_dpp v4, v4, v4 row_bcast:31 row_mask:0xf bank_mask:0xf// 000000001FDC: 160808FA FF014304
	v_max_f32_dpp v5, v5, v5 row_bcast:31 row_mask:0xf bank_mask:0xf// 000000001FE4: 160A0AFA FF014305
	v_max_f32_dpp v6, v6, v6 row_bcast:31 row_mask:0xf bank_mask:0xf// 000000001FEC: 160C0CFA FF014306
	v_readlane_b32 s20, v4, 63                                 // 000000001FF4: D2890014 00017F04
	v_mov_b32_e32 v35, s20                                     // 000000001FFC: 7E460214
	v_readlane_b32 s21, v5, 63                                 // 000000002000: D2890015 00017F05
	v_mov_b32_e32 v36, s21                                     // 000000002008: 7E480215
	v_readlane_b32 s22, v6, 63                                 // 00000000200C: D2890016 00017F06
	v_mov_b32_e32 v37, s22                                     // 000000002014: 7E4A0216
	v_cmp_eq_f32_e64 s[24:25], v35, v17                        // 000000002018: D0420018 00022323
	v_cmp_eq_f32_e64 s[26:27], v35, v18                        // 000000002020: D042001A 00022523
	s_ff1_i32_b64 s36, s[24:25]                                // 000000002028: BEA41118
	s_ff1_i32_b64 s37, s[26:27]                                // 00000000202C: BEA5111A
	v_cmp_eq_f32_e64 s[28:29], v36, v19                        // 000000002030: D042001C 00022724
	v_cmp_eq_f32_e64 s[30:31], v36, v20                        // 000000002038: D042001E 00022924
	s_ff1_i32_b64 s38, s[28:29]                                // 000000002040: BEA6111C
	s_ff1_i32_b64 s39, s[30:31]                                // 000000002044: BEA7111E
	v_cmp_eq_f32_e64 s[32:33], v37, v21                        // 000000002048: D0420020 00022B25
	v_cmp_eq_f32_e64 s[34:35], v37, v22                        // 000000002050: D0420022 00022D25
	s_ff1_i32_b64 s40, s[32:33]                                // 000000002058: BEA81120
	s_ff1_i32_b64 s41, s[34:35]                                // 00000000205C: BEA91122
	v_readlane_b32 s20, v35, 0                                 // 000000002060: D2890014 00010123
	v_writelane_b32 v26, s20, 0                                // 000000002068: D28A001A 00010014
	v_readlane_b32 s21, v36, 0                                 // 000000002070: D2890015 00010124
	v_writelane_b32 v27, s21, 0                                // 000000002078: D28A001B 00010015
	v_readlane_b32 s22, v37, 0                                 // 000000002080: D2890016 00010125
	v_writelane_b32 v28, s22, 0                                // 000000002088: D28A001C 00010016
	s_mov_b32 s22, s36                                         // 000000002090: BE960024
	s_cmp_eq_u32 s36, -1                                       // 000000002094: BF06C124
	s_cselect_b32 s21, 1, 0                                    // 000000002098: 85158081
	s_cbranch_scc0 label_012E                                  // 00000000209C: BF840006
	s_add_u32 s48, s21, s48                                    // 0000000020A0: 80303015
	s_mov_b32 s22, s37                                         // 0000000020A4: BE960025
	s_cmp_eq_u32 s37, -1                                       // 0000000020A8: BF06C125
	s_cselect_b32 s21, 1, 0                                    // 0000000020AC: 85158081
	s_cbranch_scc0 label_012E                                  // 0000000020B0: BF840001
	s_add_u32 s48, s21, s48                                    // 0000000020B4: 80303015

00000000000020b8 <label_012E>:
	s_set_gpr_idx_on s48, gpr_idx(DST)                         // 0000000020B8: BF110830
	v_writelane_b32 v17, 0, s22                                // 0000000020BC: D28A0011 00002C80
	s_set_gpr_idx_off                                          // 0000000020C4: BF9C0000
	s_mul_i32 s48, 64, s48                                     // 0000000020C8: 923030C0
	s_add_u32 s48, s22, s48                                    // 0000000020CC: 80303016
	v_writelane_b32 v23, s48, 0                                // 0000000020D0: D28A0017 00010030
	s_mov_b32 s22, s38                                         // 0000000020D8: BE960026
	s_cmp_eq_u32 s38, -1                                       // 0000000020DC: BF06C126
	s_cselect_b32 s21, 1, 0                                    // 0000000020E0: 85158081
	s_cbranch_scc0 label_0140                                  // 0000000020E4: BF840006
	s_add_u32 s54, s21, s54                                    // 0000000020E8: 80363615
	s_mov_b32 s22, s39                                         // 0000000020EC: BE960027
	s_cmp_eq_u32 s39, -1                                       // 0000000020F0: BF06C127
	s_cselect_b32 s21, 1, 0                                    // 0000000020F4: 85158081
	s_cbranch_scc0 label_0140                                  // 0000000020F8: BF840001
	s_add_u32 s54, s21, s54                                    // 0000000020FC: 80363615

0000000000002100 <label_0140>:
	s_set_gpr_idx_on s54, gpr_idx(DST)                         // 000000002100: BF110836
	v_writelane_b32 v19, 0, s22                                // 000000002104: D28A0013 00002C80
	s_set_gpr_idx_off                                          // 00000000210C: BF9C0000
	s_mul_i32 s54, 64, s54                                     // 000000002110: 923636C0
	s_add_u32 s54, s22, s54                                    // 000000002114: 80363616
	v_writelane_b32 v24, s54, 0                                // 000000002118: D28A0018 00010036
	s_mov_b32 s22, s40                                         // 000000002120: BE960028
	s_cmp_eq_u32 s40, -1                                       // 000000002124: BF06C128
	s_cselect_b32 s21, 1, 0                                    // 000000002128: 85158081
	s_cbranch_scc0 label_0152                                  // 00000000212C: BF840006
	s_add_u32 s60, s21, s60                                    // 000000002130: 803C3C15
	s_mov_b32 s22, s41                                         // 000000002134: BE960029
	s_cmp_eq_u32 s41, -1                                       // 000000002138: BF06C129
	s_cselect_b32 s21, 1, 0                                    // 00000000213C: 85158081
	s_cbranch_scc0 label_0152                                  // 000000002140: BF840001
	s_add_u32 s60, s21, s60                                    // 000000002144: 803C3C15

0000000000002148 <label_0152>:
	s_set_gpr_idx_on s60, gpr_idx(DST)                         // 000000002148: BF11083C
	v_writelane_b32 v21, 0, s22                                // 00000000214C: D28A0015 00002C80
	s_set_gpr_idx_off                                          // 000000002154: BF9C0000
	s_mul_i32 s60, 64, s60                                     // 000000002158: 923C3CC0
	s_add_u32 s60, s22, s60                                    // 00000000215C: 803C3C16
	v_writelane_b32 v25, s60, 0                                // 000000002160: D28A0019 0001003C
	v_max_f32_e32 v35, v17, v18                                // 000000002168: 16462511
	v_max_f32_e32 v36, v19, v20                                // 00000000216C: 16482913
	v_max_f32_e32 v37, v21, v22                                // 000000002170: 164A2D15
	v_max_f32_dpp v4, v35, v35 quad_perm:[1,0,3,2] row_mask:0xf bank_mask:0xf// 000000002174: 160846FA FF00B123
	v_max_f32_dpp v5, v36, v36 quad_perm:[1,0,3,2] row_mask:0xf bank_mask:0xf// 00000000217C: 160A48FA FF00B124
	v_max_f32_dpp v6, v37, v37 quad_perm:[1,0,3,2] row_mask:0xf bank_mask:0xf// 000000002184: 160C4AFA FF00B125
	v_max_f32_dpp v4, v4, v4 quad_perm:[2,3,0,1] row_mask:0xf bank_mask:0xf// 00000000218C: 160808FA FF004E04
	v_max_f32_dpp v5, v5, v5 quad_perm:[2,3,0,1] row_mask:0xf bank_mask:0xf// 000000002194: 160A0AFA FF004E05
	v_max_f32_dpp v6, v6, v6 quad_perm:[2,3,0,1] row_mask:0xf bank_mask:0xf// 00000000219C: 160C0CFA FF004E06
	v_max_f32_dpp v4, v4, v4 row_shr:4 row_mask:0xf bank_mask:0xf// 0000000021A4: 160808FA FF011404
	v_max_f32_dpp v5, v5, v5 row_shr:4 row_mask:0xf bank_mask:0xf// 0000000021AC: 160A0AFA FF011405
	v_max_f32_dpp v6, v6, v6 row_shr:4 row_mask:0xf bank_mask:0xf// 0000000021B4: 160C0CFA FF011406
	v_max_f32_dpp v4, v4, v4 row_shr:8 row_mask:0xf bank_mask:0xf// 0000000021BC: 160808FA FF011804
	v_max_f32_dpp v5, v5, v5 row_shr:8 row_mask:0xf bank_mask:0xf// 0000000021C4: 160A0AFA FF011805
	v_max_f32_dpp v6, v6, v6 row_shr:8 row_mask:0xf bank_mask:0xf// 0000000021CC: 160C0CFA FF011806
	v_max_f32_dpp v4, v4, v4 row_bcast:15 row_mask:0xf bank_mask:0xf// 0000000021D4: 160808FA FF014204
	v_max_f32_dpp v5, v5, v5 row_bcast:15 row_mask:0xf bank_mask:0xf// 0000000021DC: 160A0AFA FF014205
	v_max_f32_dpp v6, v6, v6 row_bcast:15 row_mask:0xf bank_mask:0xf// 0000000021E4: 160C0CFA FF014206
	v_max_f32_dpp v4, v4, v4 row_bcast:31 row_mask:0xf bank_mask:0xf// 0000000021EC: 160808FA FF014304
	v_max_f32_dpp v5, v5, v5 row_bcast:31 row_mask:0xf bank_mask:0xf// 0000000021F4: 160A0AFA FF014305
	v_max_f32_dpp v6, v6, v6 row_bcast:31 row_mask:0xf bank_mask:0xf// 0000000021FC: 160C0CFA FF014306
	v_readlane_b32 s20, v4, 63                                 // 000000002204: D2890014 00017F04
	v_mov_b32_e32 v35, s20                                     // 00000000220C: 7E460214
	v_readlane_b32 s21, v5, 63                                 // 000000002210: D2890015 00017F05
	v_mov_b32_e32 v36, s21                                     // 000000002218: 7E480215
	v_readlane_b32 s22, v6, 63                                 // 00000000221C: D2890016 00017F06
	v_mov_b32_e32 v37, s22                                     // 000000002224: 7E4A0216
	v_cmp_eq_f32_e64 s[24:25], v35, v17                        // 000000002228: D0420018 00022323
	v_cmp_eq_f32_e64 s[26:27], v35, v18                        // 000000002230: D042001A 00022523
	s_ff1_i32_b64 s36, s[24:25]                                // 000000002238: BEA41118
	s_ff1_i32_b64 s37, s[26:27]                                // 00000000223C: BEA5111A
	v_cmp_eq_f32_e64 s[28:29], v36, v19                        // 000000002240: D042001C 00022724
	v_cmp_eq_f32_e64 s[30:31], v36, v20                        // 000000002248: D042001E 00022924
	s_ff1_i32_b64 s38, s[28:29]                                // 000000002250: BEA6111C
	s_ff1_i32_b64 s39, s[30:31]                                // 000000002254: BEA7111E
	v_cmp_eq_f32_e64 s[32:33], v37, v21                        // 000000002258: D0420020 00022B25
	v_cmp_eq_f32_e64 s[34:35], v37, v22                        // 000000002260: D0420022 00022D25
	s_ff1_i32_b64 s40, s[32:33]                                // 000000002268: BEA81120
	s_ff1_i32_b64 s41, s[34:35]                                // 00000000226C: BEA91122
	v_readlane_b32 s20, v35, 0                                 // 000000002270: D2890014 00010123
	v_writelane_b32 v26, s20, 1                                // 000000002278: D28A001A 00010214
	v_readlane_b32 s21, v36, 0                                 // 000000002280: D2890015 00010124
	v_writelane_b32 v27, s21, 1                                // 000000002288: D28A001B 00010215
	v_readlane_b32 s22, v37, 0                                 // 000000002290: D2890016 00010125
	v_writelane_b32 v28, s22, 1                                // 000000002298: D28A001C 00010216
	s_mov_b32 s22, s36                                         // 0000000022A0: BE960024
	s_cmp_eq_u32 s36, -1                                       // 0000000022A4: BF06C124
	s_cselect_b32 s21, 1, 0                                    // 0000000022A8: 85158081
	s_cbranch_scc0 label_01B2                                  // 0000000022AC: BF840006
	s_add_u32 s49, s21, s49                                    // 0000000022B0: 80313115
	s_mov_b32 s22, s37                                         // 0000000022B4: BE960025
	s_cmp_eq_u32 s37, -1                                       // 0000000022B8: BF06C125
	s_cselect_b32 s21, 1, 0                                    // 0000000022BC: 85158081
	s_cbranch_scc0 label_01B2                                  // 0000000022C0: BF840001
	s_add_u32 s49, s21, s49                                    // 0000000022C4: 80313115

00000000000022c8 <label_01B2>:
	s_set_gpr_idx_on s49, gpr_idx(DST)                         // 0000000022C8: BF110831
	v_writelane_b32 v17, 0, s22                                // 0000000022CC: D28A0011 00002C80
	s_set_gpr_idx_off                                          // 0000000022D4: BF9C0000
	s_mul_i32 s49, 64, s49                                     // 0000000022D8: 923131C0
	s_add_u32 s49, s22, s49                                    // 0000000022DC: 80313116
	v_writelane_b32 v23, s49, 1                                // 0000000022E0: D28A0017 00010231
	s_mov_b32 s22, s38                                         // 0000000022E8: BE960026
	s_cmp_eq_u32 s38, -1                                       // 0000000022EC: BF06C126
	s_cselect_b32 s21, 1, 0                                    // 0000000022F0: 85158081
	s_cbranch_scc0 label_01C4                                  // 0000000022F4: BF840006
	s_add_u32 s55, s21, s55                                    // 0000000022F8: 80373715
	s_mov_b32 s22, s39                                         // 0000000022FC: BE960027
	s_cmp_eq_u32 s39, -1                                       // 000000002300: BF06C127
	s_cselect_b32 s21, 1, 0                                    // 000000002304: 85158081
	s_cbranch_scc0 label_01C4                                  // 000000002308: BF840001
	s_add_u32 s55, s21, s55                                    // 00000000230C: 80373715

0000000000002310 <label_01C4>:
	s_set_gpr_idx_on s55, gpr_idx(DST)                         // 000000002310: BF110837
	v_writelane_b32 v19, 0, s22                                // 000000002314: D28A0013 00002C80
	s_set_gpr_idx_off                                          // 00000000231C: BF9C0000
	s_mul_i32 s55, 64, s55                                     // 000000002320: 923737C0
	s_add_u32 s55, s22, s55                                    // 000000002324: 80373716
	v_writelane_b32 v24, s55, 1                                // 000000002328: D28A0018 00010237
	s_mov_b32 s22, s40                                         // 000000002330: BE960028
	s_cmp_eq_u32 s40, -1                                       // 000000002334: BF06C128
	s_cselect_b32 s21, 1, 0                                    // 000000002338: 85158081
	s_cbranch_scc0 label_01D6                                  // 00000000233C: BF840006
	s_add_u32 s61, s21, s61                                    // 000000002340: 803D3D15
	s_mov_b32 s22, s41                                         // 000000002344: BE960029
	s_cmp_eq_u32 s41, -1                                       // 000000002348: BF06C129
	s_cselect_b32 s21, 1, 0                                    // 00000000234C: 85158081
	s_cbranch_scc0 label_01D6                                  // 000000002350: BF840001
	s_add_u32 s61, s21, s61                                    // 000000002354: 803D3D15

0000000000002358 <label_01D6>:
	s_set_gpr_idx_on s61, gpr_idx(DST)                         // 000000002358: BF11083D
	v_writelane_b32 v21, 0, s22                                // 00000000235C: D28A0015 00002C80
	s_set_gpr_idx_off                                          // 000000002364: BF9C0000
	s_mul_i32 s61, 64, s61                                     // 000000002368: 923D3DC0
	s_add_u32 s61, s22, s61                                    // 00000000236C: 803D3D16
	v_writelane_b32 v25, s61, 1                                // 000000002370: D28A0019 0001023D
	v_max_f32_e32 v35, v17, v18                                // 000000002378: 16462511
	v_max_f32_e32 v36, v19, v20                                // 00000000237C: 16482913
	v_max_f32_e32 v37, v21, v22                                // 000000002380: 164A2D15
	v_max_f32_dpp v4, v35, v35 quad_perm:[1,0,3,2] row_mask:0xf bank_mask:0xf// 000000002384: 160846FA FF00B123
	v_max_f32_dpp v5, v36, v36 quad_perm:[1,0,3,2] row_mask:0xf bank_mask:0xf// 00000000238C: 160A48FA FF00B124
	v_max_f32_dpp v6, v37, v37 quad_perm:[1,0,3,2] row_mask:0xf bank_mask:0xf// 000000002394: 160C4AFA FF00B125
	v_max_f32_dpp v4, v4, v4 quad_perm:[2,3,0,1] row_mask:0xf bank_mask:0xf// 00000000239C: 160808FA FF004E04
	v_max_f32_dpp v5, v5, v5 quad_perm:[2,3,0,1] row_mask:0xf bank_mask:0xf// 0000000023A4: 160A0AFA FF004E05
	v_max_f32_dpp v6, v6, v6 quad_perm:[2,3,0,1] row_mask:0xf bank_mask:0xf// 0000000023AC: 160C0CFA FF004E06
	v_max_f32_dpp v4, v4, v4 row_shr:4 row_mask:0xf bank_mask:0xf// 0000000023B4: 160808FA FF011404
	v_max_f32_dpp v5, v5, v5 row_shr:4 row_mask:0xf bank_mask:0xf// 0000000023BC: 160A0AFA FF011405
	v_max_f32_dpp v6, v6, v6 row_shr:4 row_mask:0xf bank_mask:0xf// 0000000023C4: 160C0CFA FF011406
	v_max_f32_dpp v4, v4, v4 row_shr:8 row_mask:0xf bank_mask:0xf// 0000000023CC: 160808FA FF011804
	v_max_f32_dpp v5, v5, v5 row_shr:8 row_mask:0xf bank_mask:0xf// 0000000023D4: 160A0AFA FF011805
	v_max_f32_dpp v6, v6, v6 row_shr:8 row_mask:0xf bank_mask:0xf// 0000000023DC: 160C0CFA FF011806
	v_max_f32_dpp v4, v4, v4 row_bcast:15 row_mask:0xf bank_mask:0xf// 0000000023E4: 160808FA FF014204
	v_max_f32_dpp v5, v5, v5 row_bcast:15 row_mask:0xf bank_mask:0xf// 0000000023EC: 160A0AFA FF014205
	v_max_f32_dpp v6, v6, v6 row_bcast:15 row_mask:0xf bank_mask:0xf// 0000000023F4: 160C0CFA FF014206
	v_max_f32_dpp v4, v4, v4 row_bcast:31 row_mask:0xf bank_mask:0xf// 0000000023FC: 160808FA FF014304
	v_max_f32_dpp v5, v5, v5 row_bcast:31 row_mask:0xf bank_mask:0xf// 000000002404: 160A0AFA FF014305
	v_max_f32_dpp v6, v6, v6 row_bcast:31 row_mask:0xf bank_mask:0xf// 00000000240C: 160C0CFA FF014306
	v_readlane_b32 s20, v4, 63                                 // 000000002414: D2890014 00017F04
	v_mov_b32_e32 v35, s20                                     // 00000000241C: 7E460214
	v_readlane_b32 s21, v5, 63                                 // 000000002420: D2890015 00017F05
	v_mov_b32_e32 v36, s21                                     // 000000002428: 7E480215
	v_readlane_b32 s22, v6, 63                                 // 00000000242C: D2890016 00017F06
	v_mov_b32_e32 v37, s22                                     // 000000002434: 7E4A0216
	v_cmp_eq_f32_e64 s[24:25], v35, v17                        // 000000002438: D0420018 00022323
	v_cmp_eq_f32_e64 s[26:27], v35, v18                        // 000000002440: D042001A 00022523
	s_ff1_i32_b64 s36, s[24:25]                                // 000000002448: BEA41118
	s_ff1_i32_b64 s37, s[26:27]                                // 00000000244C: BEA5111A
	v_cmp_eq_f32_e64 s[28:29], v36, v19                        // 000000002450: D042001C 00022724
	v_cmp_eq_f32_e64 s[30:31], v36, v20                        // 000000002458: D042001E 00022924
	s_ff1_i32_b64 s38, s[28:29]                                // 000000002460: BEA6111C
	s_ff1_i32_b64 s39, s[30:31]                                // 000000002464: BEA7111E
	v_cmp_eq_f32_e64 s[32:33], v37, v21                        // 000000002468: D0420020 00022B25
	v_cmp_eq_f32_e64 s[34:35], v37, v22                        // 000000002470: D0420022 00022D25
	s_ff1_i32_b64 s40, s[32:33]                                // 000000002478: BEA81120
	s_ff1_i32_b64 s41, s[34:35]                                // 00000000247C: BEA91122
	v_readlane_b32 s20, v35, 0                                 // 000000002480: D2890014 00010123
	v_writelane_b32 v26, s20, 2                                // 000000002488: D28A001A 00010414
	v_readlane_b32 s21, v36, 0                                 // 000000002490: D2890015 00010124
	v_writelane_b32 v27, s21, 2                                // 000000002498: D28A001B 00010415
	v_readlane_b32 s22, v37, 0                                 // 0000000024A0: D2890016 00010125
	v_writelane_b32 v28, s22, 2                                // 0000000024A8: D28A001C 00010416
	s_mov_b32 s22, s36                                         // 0000000024B0: BE960024
	s_cmp_eq_u32 s36, -1                                       // 0000000024B4: BF06C124
	s_cselect_b32 s21, 1, 0                                    // 0000000024B8: 85158081
	s_cbranch_scc0 label_0236                                  // 0000000024BC: BF840006
	s_add_u32 s50, s21, s50                                    // 0000000024C0: 80323215
	s_mov_b32 s22, s37                                         // 0000000024C4: BE960025
	s_cmp_eq_u32 s37, -1                                       // 0000000024C8: BF06C125
	s_cselect_b32 s21, 1, 0                                    // 0000000024CC: 85158081
	s_cbranch_scc0 label_0236                                  // 0000000024D0: BF840001
	s_add_u32 s50, s21, s50                                    // 0000000024D4: 80323215

00000000000024d8 <label_0236>:
	s_set_gpr_idx_on s50, gpr_idx(DST)                         // 0000000024D8: BF110832
	v_writelane_b32 v17, 0, s22                                // 0000000024DC: D28A0011 00002C80
	s_set_gpr_idx_off                                          // 0000000024E4: BF9C0000
	s_mul_i32 s50, 64, s50                                     // 0000000024E8: 923232C0
	s_add_u32 s50, s22, s50                                    // 0000000024EC: 80323216
	v_writelane_b32 v23, s50, 2                                // 0000000024F0: D28A0017 00010432
	s_mov_b32 s22, s38                                         // 0000000024F8: BE960026
	s_cmp_eq_u32 s38, -1                                       // 0000000024FC: BF06C126
	s_cselect_b32 s21, 1, 0                                    // 000000002500: 85158081
	s_cbranch_scc0 label_0248                                  // 000000002504: BF840006
	s_add_u32 s56, s21, s56                                    // 000000002508: 80383815
	s_mov_b32 s22, s39                                         // 00000000250C: BE960027
	s_cmp_eq_u32 s39, -1                                       // 000000002510: BF06C127
	s_cselect_b32 s21, 1, 0                                    // 000000002514: 85158081
	s_cbranch_scc0 label_0248                                  // 000000002518: BF840001
	s_add_u32 s56, s21, s56                                    // 00000000251C: 80383815

0000000000002520 <label_0248>:
	s_set_gpr_idx_on s56, gpr_idx(DST)                         // 000000002520: BF110838
	v_writelane_b32 v19, 0, s22                                // 000000002524: D28A0013 00002C80
	s_set_gpr_idx_off                                          // 00000000252C: BF9C0000
	s_mul_i32 s56, 64, s56                                     // 000000002530: 923838C0
	s_add_u32 s56, s22, s56                                    // 000000002534: 80383816
	v_writelane_b32 v24, s56, 2                                // 000000002538: D28A0018 00010438
	s_mov_b32 s22, s40                                         // 000000002540: BE960028
	s_cmp_eq_u32 s40, -1                                       // 000000002544: BF06C128
	s_cselect_b32 s21, 1, 0                                    // 000000002548: 85158081
	s_cbranch_scc0 label_025A                                  // 00000000254C: BF840006
	s_add_u32 s62, s21, s62                                    // 000000002550: 803E3E15
	s_mov_b32 s22, s41                                         // 000000002554: BE960029
	s_cmp_eq_u32 s41, -1                                       // 000000002558: BF06C129
	s_cselect_b32 s21, 1, 0                                    // 00000000255C: 85158081
	s_cbranch_scc0 label_025A                                  // 000000002560: BF840001
	s_add_u32 s62, s21, s62                                    // 000000002564: 803E3E15

0000000000002568 <label_025A>:
	s_set_gpr_idx_on s62, gpr_idx(DST)                         // 000000002568: BF11083E
	v_writelane_b32 v21, 0, s22                                // 00000000256C: D28A0015 00002C80
	s_set_gpr_idx_off                                          // 000000002574: BF9C0000
	s_mul_i32 s62, 64, s62                                     // 000000002578: 923E3EC0
	s_add_u32 s62, s22, s62                                    // 00000000257C: 803E3E16
	v_writelane_b32 v25, s62, 2                                // 000000002580: D28A0019 0001043E
	v_max_f32_e32 v35, v17, v18                                // 000000002588: 16462511
	v_max_f32_e32 v36, v19, v20                                // 00000000258C: 16482913
	v_max_f32_e32 v37, v21, v22                                // 000000002590: 164A2D15
	v_max_f32_dpp v4, v35, v35 quad_perm:[1,0,3,2] row_mask:0xf bank_mask:0xf// 000000002594: 160846FA FF00B123
	v_max_f32_dpp v5, v36, v36 quad_perm:[1,0,3,2] row_mask:0xf bank_mask:0xf// 00000000259C: 160A48FA FF00B124
	v_max_f32_dpp v6, v37, v37 quad_perm:[1,0,3,2] row_mask:0xf bank_mask:0xf// 0000000025A4: 160C4AFA FF00B125
	v_max_f32_dpp v4, v4, v4 quad_perm:[2,3,0,1] row_mask:0xf bank_mask:0xf// 0000000025AC: 160808FA FF004E04
	v_max_f32_dpp v5, v5, v5 quad_perm:[2,3,0,1] row_mask:0xf bank_mask:0xf// 0000000025B4: 160A0AFA FF004E05
	v_max_f32_dpp v6, v6, v6 quad_perm:[2,3,0,1] row_mask:0xf bank_mask:0xf// 0000000025BC: 160C0CFA FF004E06
	v_max_f32_dpp v4, v4, v4 row_shr:4 row_mask:0xf bank_mask:0xf// 0000000025C4: 160808FA FF011404
	v_max_f32_dpp v5, v5, v5 row_shr:4 row_mask:0xf bank_mask:0xf// 0000000025CC: 160A0AFA FF011405
	v_max_f32_dpp v6, v6, v6 row_shr:4 row_mask:0xf bank_mask:0xf// 0000000025D4: 160C0CFA FF011406
	v_max_f32_dpp v4, v4, v4 row_shr:8 row_mask:0xf bank_mask:0xf// 0000000025DC: 160808FA FF011804
	v_max_f32_dpp v5, v5, v5 row_shr:8 row_mask:0xf bank_mask:0xf// 0000000025E4: 160A0AFA FF011805
	v_max_f32_dpp v6, v6, v6 row_shr:8 row_mask:0xf bank_mask:0xf// 0000000025EC: 160C0CFA FF011806
	v_max_f32_dpp v4, v4, v4 row_bcast:15 row_mask:0xf bank_mask:0xf// 0000000025F4: 160808FA FF014204
	v_max_f32_dpp v5, v5, v5 row_bcast:15 row_mask:0xf bank_mask:0xf// 0000000025FC: 160A0AFA FF014205
	v_max_f32_dpp v6, v6, v6 row_bcast:15 row_mask:0xf bank_mask:0xf// 000000002604: 160C0CFA FF014206
	v_max_f32_dpp v4, v4, v4 row_bcast:31 row_mask:0xf bank_mask:0xf// 00000000260C: 160808FA FF014304
	v_max_f32_dpp v5, v5, v5 row_bcast:31 row_mask:0xf bank_mask:0xf// 000000002614: 160A0AFA FF014305
	v_max_f32_dpp v6, v6, v6 row_bcast:31 row_mask:0xf bank_mask:0xf// 00000000261C: 160C0CFA FF014306
	v_readlane_b32 s20, v4, 63                                 // 000000002624: D2890014 00017F04
	v_mov_b32_e32 v35, s20                                     // 00000000262C: 7E460214
	v_readlane_b32 s21, v5, 63                                 // 000000002630: D2890015 00017F05
	v_mov_b32_e32 v36, s21                                     // 000000002638: 7E480215
	v_readlane_b32 s22, v6, 63                                 // 00000000263C: D2890016 00017F06
	v_mov_b32_e32 v37, s22                                     // 000000002644: 7E4A0216
	v_cmp_eq_f32_e64 s[24:25], v35, v17                        // 000000002648: D0420018 00022323
	v_cmp_eq_f32_e64 s[26:27], v35, v18                        // 000000002650: D042001A 00022523
	s_ff1_i32_b64 s36, s[24:25]                                // 000000002658: BEA41118
	s_ff1_i32_b64 s37, s[26:27]                                // 00000000265C: BEA5111A
	v_cmp_eq_f32_e64 s[28:29], v36, v19                        // 000000002660: D042001C 00022724
	v_cmp_eq_f32_e64 s[30:31], v36, v20                        // 000000002668: D042001E 00022924
	s_ff1_i32_b64 s38, s[28:29]                                // 000000002670: BEA6111C
	s_ff1_i32_b64 s39, s[30:31]                                // 000000002674: BEA7111E
	v_cmp_eq_f32_e64 s[32:33], v37, v21                        // 000000002678: D0420020 00022B25
	v_cmp_eq_f32_e64 s[34:35], v37, v22                        // 000000002680: D0420022 00022D25
	s_ff1_i32_b64 s40, s[32:33]                                // 000000002688: BEA81120
	s_ff1_i32_b64 s41, s[34:35]                                // 00000000268C: BEA91122
	v_readlane_b32 s20, v35, 0                                 // 000000002690: D2890014 00010123
	v_writelane_b32 v26, s20, 3                                // 000000002698: D28A001A 00010614
	v_readlane_b32 s21, v36, 0                                 // 0000000026A0: D2890015 00010124
	v_writelane_b32 v27, s21, 3                                // 0000000026A8: D28A001B 00010615
	v_readlane_b32 s22, v37, 0                                 // 0000000026B0: D2890016 00010125
	v_writelane_b32 v28, s22, 3                                // 0000000026B8: D28A001C 00010616
	s_mov_b32 s22, s36                                         // 0000000026C0: BE960024
	s_cmp_eq_u32 s36, -1                                       // 0000000026C4: BF06C124
	s_cselect_b32 s21, 1, 0                                    // 0000000026C8: 85158081
	s_cbranch_scc0 label_02BA                                  // 0000000026CC: BF840006
	s_add_u32 s51, s21, s51                                    // 0000000026D0: 80333315
	s_mov_b32 s22, s37                                         // 0000000026D4: BE960025
	s_cmp_eq_u32 s37, -1                                       // 0000000026D8: BF06C125
	s_cselect_b32 s21, 1, 0                                    // 0000000026DC: 85158081
	s_cbranch_scc0 label_02BA                                  // 0000000026E0: BF840001
	s_add_u32 s51, s21, s51                                    // 0000000026E4: 80333315

00000000000026e8 <label_02BA>:
	s_set_gpr_idx_on s51, gpr_idx(DST)                         // 0000000026E8: BF110833
	v_writelane_b32 v17, 0, s22                                // 0000000026EC: D28A0011 00002C80
	s_set_gpr_idx_off                                          // 0000000026F4: BF9C0000
	s_mul_i32 s51, 64, s51                                     // 0000000026F8: 923333C0
	s_add_u32 s51, s22, s51                                    // 0000000026FC: 80333316
	v_writelane_b32 v23, s51, 3                                // 000000002700: D28A0017 00010633
	s_mov_b32 s22, s38                                         // 000000002708: BE960026
	s_cmp_eq_u32 s38, -1                                       // 00000000270C: BF06C126
	s_cselect_b32 s21, 1, 0                                    // 000000002710: 85158081
	s_cbranch_scc0 label_02CC                                  // 000000002714: BF840006
	s_add_u32 s57, s21, s57                                    // 000000002718: 80393915
	s_mov_b32 s22, s39                                         // 00000000271C: BE960027
	s_cmp_eq_u32 s39, -1                                       // 000000002720: BF06C127
	s_cselect_b32 s21, 1, 0                                    // 000000002724: 85158081
	s_cbranch_scc0 label_02CC                                  // 000000002728: BF840001
	s_add_u32 s57, s21, s57                                    // 00000000272C: 80393915

0000000000002730 <label_02CC>:
	s_set_gpr_idx_on s57, gpr_idx(DST)                         // 000000002730: BF110839
	v_writelane_b32 v19, 0, s22                                // 000000002734: D28A0013 00002C80
	s_set_gpr_idx_off                                          // 00000000273C: BF9C0000
	s_mul_i32 s57, 64, s57                                     // 000000002740: 923939C0
	s_add_u32 s57, s22, s57                                    // 000000002744: 80393916
	v_writelane_b32 v24, s57, 3                                // 000000002748: D28A0018 00010639
	s_mov_b32 s22, s40                                         // 000000002750: BE960028
	s_cmp_eq_u32 s40, -1                                       // 000000002754: BF06C128
	s_cselect_b32 s21, 1, 0                                    // 000000002758: 85158081
	s_cbranch_scc0 label_02DE                                  // 00000000275C: BF840006
	s_add_u32 s63, s21, s63                                    // 000000002760: 803F3F15
	s_mov_b32 s22, s41                                         // 000000002764: BE960029
	s_cmp_eq_u32 s41, -1                                       // 000000002768: BF06C129
	s_cselect_b32 s21, 1, 0                                    // 00000000276C: 85158081
	s_cbranch_scc0 label_02DE                                  // 000000002770: BF840001
	s_add_u32 s63, s21, s63                                    // 000000002774: 803F3F15

0000000000002778 <label_02DE>:
	s_set_gpr_idx_on s63, gpr_idx(DST)                         // 000000002778: BF11083F
	v_writelane_b32 v21, 0, s22                                // 00000000277C: D28A0015 00002C80
	s_set_gpr_idx_off                                          // 000000002784: BF9C0000
	s_mul_i32 s63, 64, s63                                     // 000000002788: 923F3FC0
	s_add_u32 s63, s22, s63                                    // 00000000278C: 803F3F16
	v_writelane_b32 v25, s63, 3                                // 000000002790: D28A0019 0001063F
	v_max_f32_e32 v35, v17, v18                                // 000000002798: 16462511
	v_max_f32_e32 v36, v19, v20                                // 00000000279C: 16482913
	v_max_f32_e32 v37, v21, v22                                // 0000000027A0: 164A2D15
	v_max_f32_dpp v4, v35, v35 quad_perm:[1,0,3,2] row_mask:0xf bank_mask:0xf// 0000000027A4: 160846FA FF00B123
	v_max_f32_dpp v5, v36, v36 quad_perm:[1,0,3,2] row_mask:0xf bank_mask:0xf// 0000000027AC: 160A48FA FF00B124
	v_max_f32_dpp v6, v37, v37 quad_perm:[1,0,3,2] row_mask:0xf bank_mask:0xf// 0000000027B4: 160C4AFA FF00B125
	v_max_f32_dpp v4, v4, v4 quad_perm:[2,3,0,1] row_mask:0xf bank_mask:0xf// 0000000027BC: 160808FA FF004E04
	v_max_f32_dpp v5, v5, v5 quad_perm:[2,3,0,1] row_mask:0xf bank_mask:0xf// 0000000027C4: 160A0AFA FF004E05
	v_max_f32_dpp v6, v6, v6 quad_perm:[2,3,0,1] row_mask:0xf bank_mask:0xf// 0000000027CC: 160C0CFA FF004E06
	v_max_f32_dpp v4, v4, v4 row_shr:4 row_mask:0xf bank_mask:0xf// 0000000027D4: 160808FA FF011404
	v_max_f32_dpp v5, v5, v5 row_shr:4 row_mask:0xf bank_mask:0xf// 0000000027DC: 160A0AFA FF011405
	v_max_f32_dpp v6, v6, v6 row_shr:4 row_mask:0xf bank_mask:0xf// 0000000027E4: 160C0CFA FF011406
	v_max_f32_dpp v4, v4, v4 row_shr:8 row_mask:0xf bank_mask:0xf// 0000000027EC: 160808FA FF011804
	v_max_f32_dpp v5, v5, v5 row_shr:8 row_mask:0xf bank_mask:0xf// 0000000027F4: 160A0AFA FF011805
	v_max_f32_dpp v6, v6, v6 row_shr:8 row_mask:0xf bank_mask:0xf// 0000000027FC: 160C0CFA FF011806
	v_max_f32_dpp v4, v4, v4 row_bcast:15 row_mask:0xf bank_mask:0xf// 000000002804: 160808FA FF014204
	v_max_f32_dpp v5, v5, v5 row_bcast:15 row_mask:0xf bank_mask:0xf// 00000000280C: 160A0AFA FF014205
	v_max_f32_dpp v6, v6, v6 row_bcast:15 row_mask:0xf bank_mask:0xf// 000000002814: 160C0CFA FF014206
	v_max_f32_dpp v4, v4, v4 row_bcast:31 row_mask:0xf bank_mask:0xf// 00000000281C: 160808FA FF014304
	v_max_f32_dpp v5, v5, v5 row_bcast:31 row_mask:0xf bank_mask:0xf// 000000002824: 160A0AFA FF014305
	v_max_f32_dpp v6, v6, v6 row_bcast:31 row_mask:0xf bank_mask:0xf// 00000000282C: 160C0CFA FF014306
	v_readlane_b32 s20, v4, 63                                 // 000000002834: D2890014 00017F04
	v_mov_b32_e32 v35, s20                                     // 00000000283C: 7E460214
	v_readlane_b32 s21, v5, 63                                 // 000000002840: D2890015 00017F05
	v_mov_b32_e32 v36, s21                                     // 000000002848: 7E480215
	v_readlane_b32 s22, v6, 63                                 // 00000000284C: D2890016 00017F06
	v_mov_b32_e32 v37, s22                                     // 000000002854: 7E4A0216
	v_cmp_eq_f32_e64 s[24:25], v35, v17                        // 000000002858: D0420018 00022323
	v_cmp_eq_f32_e64 s[26:27], v35, v18                        // 000000002860: D042001A 00022523
	s_ff1_i32_b64 s36, s[24:25]                                // 000000002868: BEA41118
	s_ff1_i32_b64 s37, s[26:27]                                // 00000000286C: BEA5111A
	v_cmp_eq_f32_e64 s[28:29], v36, v19                        // 000000002870: D042001C 00022724
	v_cmp_eq_f32_e64 s[30:31], v36, v20                        // 000000002878: D042001E 00022924
	s_ff1_i32_b64 s38, s[28:29]                                // 000000002880: BEA6111C
	s_ff1_i32_b64 s39, s[30:31]                                // 000000002884: BEA7111E
	v_cmp_eq_f32_e64 s[32:33], v37, v21                        // 000000002888: D0420020 00022B25
	v_cmp_eq_f32_e64 s[34:35], v37, v22                        // 000000002890: D0420022 00022D25
	s_ff1_i32_b64 s40, s[32:33]                                // 000000002898: BEA81120
	s_ff1_i32_b64 s41, s[34:35]                                // 00000000289C: BEA91122
	v_readlane_b32 s20, v35, 0                                 // 0000000028A0: D2890014 00010123
	v_writelane_b32 v26, s20, 4                                // 0000000028A8: D28A001A 00010814
	v_readlane_b32 s21, v36, 0                                 // 0000000028B0: D2890015 00010124
	v_writelane_b32 v27, s21, 4                                // 0000000028B8: D28A001B 00010815
	v_readlane_b32 s22, v37, 0                                 // 0000000028C0: D2890016 00010125
	v_writelane_b32 v28, s22, 4                                // 0000000028C8: D28A001C 00010816
	s_mov_b32 s22, s36                                         // 0000000028D0: BE960024
	s_cmp_eq_u32 s36, -1                                       // 0000000028D4: BF06C124
	s_cselect_b32 s21, 1, 0                                    // 0000000028D8: 85158081
	s_cbranch_scc0 label_033E                                  // 0000000028DC: BF840006
	s_add_u32 s52, s21, s52                                    // 0000000028E0: 80343415
	s_mov_b32 s22, s37                                         // 0000000028E4: BE960025
	s_cmp_eq_u32 s37, -1                                       // 0000000028E8: BF06C125
	s_cselect_b32 s21, 1, 0                                    // 0000000028EC: 85158081
	s_cbranch_scc0 label_033E                                  // 0000000028F0: BF840001
	s_add_u32 s52, s21, s52                                    // 0000000028F4: 80343415

00000000000028f8 <label_033E>:
	s_set_gpr_idx_on s52, gpr_idx(DST)                         // 0000000028F8: BF110834
	v_writelane_b32 v17, 0, s22                                // 0000000028FC: D28A0011 00002C80
	s_set_gpr_idx_off                                          // 000000002904: BF9C0000
	s_mul_i32 s52, 64, s52                                     // 000000002908: 923434C0
	s_add_u32 s52, s22, s52                                    // 00000000290C: 80343416
	v_writelane_b32 v23, s52, 4                                // 000000002910: D28A0017 00010834
	s_mov_b32 s22, s38                                         // 000000002918: BE960026
	s_cmp_eq_u32 s38, -1                                       // 00000000291C: BF06C126
	s_cselect_b32 s21, 1, 0                                    // 000000002920: 85158081
	s_cbranch_scc0 label_0350                                  // 000000002924: BF840006
	s_add_u32 s58, s21, s58                                    // 000000002928: 803A3A15
	s_mov_b32 s22, s39                                         // 00000000292C: BE960027
	s_cmp_eq_u32 s39, -1                                       // 000000002930: BF06C127
	s_cselect_b32 s21, 1, 0                                    // 000000002934: 85158081
	s_cbranch_scc0 label_0350                                  // 000000002938: BF840001
	s_add_u32 s58, s21, s58                                    // 00000000293C: 803A3A15

0000000000002940 <label_0350>:
	s_set_gpr_idx_on s58, gpr_idx(DST)                         // 000000002940: BF11083A
	v_writelane_b32 v19, 0, s22                                // 000000002944: D28A0013 00002C80
	s_set_gpr_idx_off                                          // 00000000294C: BF9C0000
	s_mul_i32 s58, 64, s58                                     // 000000002950: 923A3AC0
	s_add_u32 s58, s22, s58                                    // 000000002954: 803A3A16
	v_writelane_b32 v24, s58, 4                                // 000000002958: D28A0018 0001083A
	s_mov_b32 s22, s40                                         // 000000002960: BE960028
	s_cmp_eq_u32 s40, -1                                       // 000000002964: BF06C128
	s_cselect_b32 s21, 1, 0                                    // 000000002968: 85158081
	s_cbranch_scc0 label_0362                                  // 00000000296C: BF840006
	s_add_u32 s64, s21, s64                                    // 000000002970: 80404015
	s_mov_b32 s22, s41                                         // 000000002974: BE960029
	s_cmp_eq_u32 s41, -1                                       // 000000002978: BF06C129
	s_cselect_b32 s21, 1, 0                                    // 00000000297C: 85158081
	s_cbranch_scc0 label_0362                                  // 000000002980: BF840001
	s_add_u32 s64, s21, s64                                    // 000000002984: 80404015

0000000000002988 <label_0362>:
	s_set_gpr_idx_on s64, gpr_idx(DST)                         // 000000002988: BF110840
	v_writelane_b32 v21, 0, s22                                // 00000000298C: D28A0015 00002C80
	s_set_gpr_idx_off                                          // 000000002994: BF9C0000
	s_mul_i32 s64, 64, s64                                     // 000000002998: 924040C0
	s_add_u32 s64, s22, s64                                    // 00000000299C: 80404016
	v_writelane_b32 v25, s64, 4                                // 0000000029A0: D28A0019 00010840
	v_max_f32_e32 v35, v17, v18                                // 0000000029A8: 16462511
	v_max_f32_e32 v36, v19, v20                                // 0000000029AC: 16482913
	v_max_f32_e32 v37, v21, v22                                // 0000000029B0: 164A2D15
	v_max_f32_dpp v4, v35, v35 quad_perm:[1,0,3,2] row_mask:0xf bank_mask:0xf// 0000000029B4: 160846FA FF00B123
	v_max_f32_dpp v5, v36, v36 quad_perm:[1,0,3,2] row_mask:0xf bank_mask:0xf// 0000000029BC: 160A48FA FF00B124
	v_max_f32_dpp v6, v37, v37 quad_perm:[1,0,3,2] row_mask:0xf bank_mask:0xf// 0000000029C4: 160C4AFA FF00B125
	v_max_f32_dpp v4, v4, v4 quad_perm:[2,3,0,1] row_mask:0xf bank_mask:0xf// 0000000029CC: 160808FA FF004E04
	v_max_f32_dpp v5, v5, v5 quad_perm:[2,3,0,1] row_mask:0xf bank_mask:0xf// 0000000029D4: 160A0AFA FF004E05
	v_max_f32_dpp v6, v6, v6 quad_perm:[2,3,0,1] row_mask:0xf bank_mask:0xf// 0000000029DC: 160C0CFA FF004E06
	v_max_f32_dpp v4, v4, v4 row_shr:4 row_mask:0xf bank_mask:0xf// 0000000029E4: 160808FA FF011404
	v_max_f32_dpp v5, v5, v5 row_shr:4 row_mask:0xf bank_mask:0xf// 0000000029EC: 160A0AFA FF011405
	v_max_f32_dpp v6, v6, v6 row_shr:4 row_mask:0xf bank_mask:0xf// 0000000029F4: 160C0CFA FF011406
	v_max_f32_dpp v4, v4, v4 row_shr:8 row_mask:0xf bank_mask:0xf// 0000000029FC: 160808FA FF011804
	v_max_f32_dpp v5, v5, v5 row_shr:8 row_mask:0xf bank_mask:0xf// 000000002A04: 160A0AFA FF011805
	v_max_f32_dpp v6, v6, v6 row_shr:8 row_mask:0xf bank_mask:0xf// 000000002A0C: 160C0CFA FF011806
	v_max_f32_dpp v4, v4, v4 row_bcast:15 row_mask:0xf bank_mask:0xf// 000000002A14: 160808FA FF014204
	v_max_f32_dpp v5, v5, v5 row_bcast:15 row_mask:0xf bank_mask:0xf// 000000002A1C: 160A0AFA FF014205
	v_max_f32_dpp v6, v6, v6 row_bcast:15 row_mask:0xf bank_mask:0xf// 000000002A24: 160C0CFA FF014206
	v_max_f32_dpp v4, v4, v4 row_bcast:31 row_mask:0xf bank_mask:0xf// 000000002A2C: 160808FA FF014304
	v_max_f32_dpp v5, v5, v5 row_bcast:31 row_mask:0xf bank_mask:0xf// 000000002A34: 160A0AFA FF014305
	v_max_f32_dpp v6, v6, v6 row_bcast:31 row_mask:0xf bank_mask:0xf// 000000002A3C: 160C0CFA FF014306
	v_readlane_b32 s20, v4, 63                                 // 000000002A44: D2890014 00017F04
	v_mov_b32_e32 v35, s20                                     // 000000002A4C: 7E460214
	v_readlane_b32 s21, v5, 63                                 // 000000002A50: D2890015 00017F05
	v_mov_b32_e32 v36, s21                                     // 000000002A58: 7E480215
	v_readlane_b32 s22, v6, 63                                 // 000000002A5C: D2890016 00017F06
	v_mov_b32_e32 v37, s22                                     // 000000002A64: 7E4A0216
	v_cmp_eq_f32_e64 s[24:25], v35, v17                        // 000000002A68: D0420018 00022323
	v_cmp_eq_f32_e64 s[26:27], v35, v18                        // 000000002A70: D042001A 00022523
	s_ff1_i32_b64 s36, s[24:25]                                // 000000002A78: BEA41118
	s_ff1_i32_b64 s37, s[26:27]                                // 000000002A7C: BEA5111A
	v_cmp_eq_f32_e64 s[28:29], v36, v19                        // 000000002A80: D042001C 00022724
	v_cmp_eq_f32_e64 s[30:31], v36, v20                        // 000000002A88: D042001E 00022924
	s_ff1_i32_b64 s38, s[28:29]                                // 000000002A90: BEA6111C
	s_ff1_i32_b64 s39, s[30:31]                                // 000000002A94: BEA7111E
	v_cmp_eq_f32_e64 s[32:33], v37, v21                        // 000000002A98: D0420020 00022B25
	v_cmp_eq_f32_e64 s[34:35], v37, v22                        // 000000002AA0: D0420022 00022D25
	s_ff1_i32_b64 s40, s[32:33]                                // 000000002AA8: BEA81120
	s_ff1_i32_b64 s41, s[34:35]                                // 000000002AAC: BEA91122
	v_readlane_b32 s20, v35, 0                                 // 000000002AB0: D2890014 00010123
	v_writelane_b32 v26, s20, 5                                // 000000002AB8: D28A001A 00010A14
	v_readlane_b32 s21, v36, 0                                 // 000000002AC0: D2890015 00010124
	v_writelane_b32 v27, s21, 5                                // 000000002AC8: D28A001B 00010A15
	v_readlane_b32 s22, v37, 0                                 // 000000002AD0: D2890016 00010125
	v_writelane_b32 v28, s22, 5                                // 000000002AD8: D28A001C 00010A16
	s_mov_b32 s22, s36                                         // 000000002AE0: BE960024
	s_cmp_eq_u32 s36, -1                                       // 000000002AE4: BF06C124
	s_cselect_b32 s21, 1, 0                                    // 000000002AE8: 85158081
	s_cbranch_scc0 label_03C2                                  // 000000002AEC: BF840006
	s_add_u32 s53, s21, s53                                    // 000000002AF0: 80353515
	s_mov_b32 s22, s37                                         // 000000002AF4: BE960025
	s_cmp_eq_u32 s37, -1                                       // 000000002AF8: BF06C125
	s_cselect_b32 s21, 1, 0                                    // 000000002AFC: 85158081
	s_cbranch_scc0 label_03C2                                  // 000000002B00: BF840001
	s_add_u32 s53, s21, s53                                    // 000000002B04: 80353515

0000000000002b08 <label_03C2>:
	s_set_gpr_idx_on s53, gpr_idx(DST)                         // 000000002B08: BF110835
	v_writelane_b32 v17, 0, s22                                // 000000002B0C: D28A0011 00002C80
	s_set_gpr_idx_off                                          // 000000002B14: BF9C0000
	s_mul_i32 s53, 64, s53                                     // 000000002B18: 923535C0
	s_add_u32 s53, s22, s53                                    // 000000002B1C: 80353516
	v_writelane_b32 v23, s53, 5                                // 000000002B20: D28A0017 00010A35
	s_mov_b32 s22, s38                                         // 000000002B28: BE960026
	s_cmp_eq_u32 s38, -1                                       // 000000002B2C: BF06C126
	s_cselect_b32 s21, 1, 0                                    // 000000002B30: 85158081
	s_cbranch_scc0 label_03D4                                  // 000000002B34: BF840006
	s_add_u32 s59, s21, s59                                    // 000000002B38: 803B3B15
	s_mov_b32 s22, s39                                         // 000000002B3C: BE960027
	s_cmp_eq_u32 s39, -1                                       // 000000002B40: BF06C127
	s_cselect_b32 s21, 1, 0                                    // 000000002B44: 85158081
	s_cbranch_scc0 label_03D4                                  // 000000002B48: BF840001
	s_add_u32 s59, s21, s59                                    // 000000002B4C: 803B3B15

0000000000002b50 <label_03D4>:
	s_set_gpr_idx_on s59, gpr_idx(DST)                         // 000000002B50: BF11083B
	v_writelane_b32 v19, 0, s22                                // 000000002B54: D28A0013 00002C80
	s_set_gpr_idx_off                                          // 000000002B5C: BF9C0000
	s_mul_i32 s59, 64, s59                                     // 000000002B60: 923B3BC0
	s_add_u32 s59, s22, s59                                    // 000000002B64: 803B3B16
	v_writelane_b32 v24, s59, 5                                // 000000002B68: D28A0018 00010A3B
	s_mov_b32 s22, s40                                         // 000000002B70: BE960028
	s_cmp_eq_u32 s40, -1                                       // 000000002B74: BF06C128
	s_cselect_b32 s21, 1, 0                                    // 000000002B78: 85158081
	s_cbranch_scc0 label_03E6                                  // 000000002B7C: BF840006
	s_add_u32 s65, s21, s65                                    // 000000002B80: 80414115
	s_mov_b32 s22, s41                                         // 000000002B84: BE960029
	s_cmp_eq_u32 s41, -1                                       // 000000002B88: BF06C129
	s_cselect_b32 s21, 1, 0                                    // 000000002B8C: 85158081
	s_cbranch_scc0 label_03E6                                  // 000000002B90: BF840001
	s_add_u32 s65, s21, s65                                    // 000000002B94: 80414115

0000000000002b98 <label_03E6>:
	s_set_gpr_idx_on s65, gpr_idx(DST)                         // 000000002B98: BF110841
	v_writelane_b32 v21, 0, s22                                // 000000002B9C: D28A0015 00002C80
	s_set_gpr_idx_off                                          // 000000002BA4: BF9C0000
	s_mul_i32 s65, 64, s65                                     // 000000002BA8: 924141C0
	s_add_u32 s65, s22, s65                                    // 000000002BAC: 80414116
	v_writelane_b32 v25, s65, 5                                // 000000002BB0: D28A0019 00010A41
	s_bfm_b64 exec, s18, 0                                     // 000000002BB8: 91FE8012
	buffer_store_dword v23, v11, s[4:7], 0 offen               // 000000002BBC: E0701000 8001170B
	buffer_store_dword v24, v12, s[4:7], 0 offen               // 000000002BC4: E0701000 8001180C
	buffer_store_dword v25, v13, s[4:7], 0 offen               // 000000002BCC: E0701000 8001190D
	buffer_store_dword v26, v14, s[8:11], 0 offen              // 000000002BD4: E0701000 80021A0E
	buffer_store_dword v27, v15, s[8:11], 0 offen              // 000000002BDC: E0701000 80021B0F
	buffer_store_dword v28, v16, s[8:11], 0 offen              // 000000002BE4: E0701000 80021C10
	s_branch label_0739                                        // 000000002BEC: BF82033D

0000000000002bf0 <label_03FC>:
	v_max_f32_e32 v35, v17, v18                                // 000000002BF0: 16462511
	v_max_f32_e32 v36, v19, v20                                // 000000002BF4: 16482913
	v_max_f32_e32 v37, v21, v22                                // 000000002BF8: 164A2D15
	v_max_f32_dpp v4, v35, v35 quad_perm:[1,0,3,2] row_mask:0xf bank_mask:0xf// 000000002BFC: 160846FA FF00B123
	v_max_f32_dpp v5, v36, v36 quad_perm:[1,0,3,2] row_mask:0xf bank_mask:0xf// 000000002C04: 160A48FA FF00B124
	v_max_f32_dpp v6, v37, v37 quad_perm:[1,0,3,2] row_mask:0xf bank_mask:0xf// 000000002C0C: 160C4AFA FF00B125
	v_max_f32_dpp v4, v4, v4 quad_perm:[2,3,0,1] row_mask:0xf bank_mask:0xf// 000000002C14: 160808FA FF004E04
	v_max_f32_dpp v5, v5, v5 quad_perm:[2,3,0,1] row_mask:0xf bank_mask:0xf// 000000002C1C: 160A0AFA FF004E05
	v_max_f32_dpp v6, v6, v6 quad_perm:[2,3,0,1] row_mask:0xf bank_mask:0xf// 000000002C24: 160C0CFA FF004E06
	v_max_f32_dpp v4, v4, v4 row_shr:4 row_mask:0xf bank_mask:0xf// 000000002C2C: 160808FA FF011404
	v_max_f32_dpp v5, v5, v5 row_shr:4 row_mask:0xf bank_mask:0xf// 000000002C34: 160A0AFA FF011405
	v_max_f32_dpp v6, v6, v6 row_shr:4 row_mask:0xf bank_mask:0xf// 000000002C3C: 160C0CFA FF011406
	v_max_f32_dpp v4, v4, v4 row_shr:8 row_mask:0xf bank_mask:0xf// 000000002C44: 160808FA FF011804
	v_max_f32_dpp v5, v5, v5 row_shr:8 row_mask:0xf bank_mask:0xf// 000000002C4C: 160A0AFA FF011805
	v_max_f32_dpp v6, v6, v6 row_shr:8 row_mask:0xf bank_mask:0xf// 000000002C54: 160C0CFA FF011806
	v_max_f32_dpp v4, v4, v4 row_bcast:15 row_mask:0xf bank_mask:0xf// 000000002C5C: 160808FA FF014204
	v_max_f32_dpp v5, v5, v5 row_bcast:15 row_mask:0xf bank_mask:0xf// 000000002C64: 160A0AFA FF014205
	v_max_f32_dpp v6, v6, v6 row_bcast:15 row_mask:0xf bank_mask:0xf// 000000002C6C: 160C0CFA FF014206
	v_max_f32_dpp v4, v4, v4 row_bcast:31 row_mask:0xf bank_mask:0xf// 000000002C74: 160808FA FF014304
	v_max_f32_dpp v5, v5, v5 row_bcast:31 row_mask:0xf bank_mask:0xf// 000000002C7C: 160A0AFA FF014305
	v_max_f32_dpp v6, v6, v6 row_bcast:31 row_mask:0xf bank_mask:0xf// 000000002C84: 160C0CFA FF014306
	v_readlane_b32 s20, v4, 63                                 // 000000002C8C: D2890014 00017F04
	v_mov_b32_e32 v35, s20                                     // 000000002C94: 7E460214
	v_readlane_b32 s21, v5, 63                                 // 000000002C98: D2890015 00017F05
	v_mov_b32_e32 v36, s21                                     // 000000002CA0: 7E480215
	v_readlane_b32 s22, v6, 63                                 // 000000002CA4: D2890016 00017F06
	v_mov_b32_e32 v37, s22                                     // 000000002CAC: 7E4A0216
	v_add_f32_e32 v41, v41, v35                                // 000000002CB0: 02524729
	v_add_f32_e32 v42, v42, v36                                // 000000002CB4: 0254492A
	v_add_f32_e32 v43, v43, v37                                // 000000002CB8: 02564B2B
	v_cmp_eq_f32_e64 s[24:25], v35, v17                        // 000000002CBC: D0420018 00022323
	v_cmp_eq_f32_e64 s[26:27], v35, v18                        // 000000002CC4: D042001A 00022523
	s_ff1_i32_b64 s36, s[24:25]                                // 000000002CCC: BEA41118
	s_ff1_i32_b64 s37, s[26:27]                                // 000000002CD0: BEA5111A
	v_cmp_eq_f32_e64 s[28:29], v36, v19                        // 000000002CD4: D042001C 00022724
	v_cmp_eq_f32_e64 s[30:31], v36, v20                        // 000000002CDC: D042001E 00022924
	s_ff1_i32_b64 s38, s[28:29]                                // 000000002CE4: BEA6111C
	s_ff1_i32_b64 s39, s[30:31]                                // 000000002CE8: BEA7111E
	v_cmp_eq_f32_e64 s[32:33], v37, v21                        // 000000002CEC: D0420020 00022B25
	v_cmp_eq_f32_e64 s[34:35], v37, v22                        // 000000002CF4: D0420022 00022D25
	s_ff1_i32_b64 s40, s[32:33]                                // 000000002CFC: BEA81120
	s_ff1_i32_b64 s41, s[34:35]                                // 000000002D00: BEA91122
	v_readlane_b32 s20, v35, 0                                 // 000000002D04: D2890014 00010123
	v_writelane_b32 v26, s20, 0                                // 000000002D0C: D28A001A 00010014
	v_readlane_b32 s21, v36, 0                                 // 000000002D14: D2890015 00010124
	v_writelane_b32 v27, s21, 0                                // 000000002D1C: D28A001B 00010015
	v_readlane_b32 s22, v37, 0                                 // 000000002D24: D2890016 00010125
	v_writelane_b32 v28, s22, 0                                // 000000002D2C: D28A001C 00010016
	s_mov_b32 s22, s36                                         // 000000002D34: BE960024
	s_cmp_eq_u32 s36, -1                                       // 000000002D38: BF06C124
	s_cselect_b32 s21, 1, 0                                    // 000000002D3C: 85158081
	s_cbranch_scc0 label_0457                                  // 000000002D40: BF840006
	s_add_u32 s48, s21, s48                                    // 000000002D44: 80303015
	s_mov_b32 s22, s37                                         // 000000002D48: BE960025
	s_cmp_eq_u32 s37, -1                                       // 000000002D4C: BF06C125
	s_cselect_b32 s21, 1, 0                                    // 000000002D50: 85158081
	s_cbranch_scc0 label_0457                                  // 000000002D54: BF840001
	s_add_u32 s48, s21, s48                                    // 000000002D58: 80303015

0000000000002d5c <label_0457>:
	s_set_gpr_idx_on s48, gpr_idx(DST)                         // 000000002D5C: BF110830
	v_writelane_b32 v17, 0, s22                                // 000000002D60: D28A0011 00002C80
	s_set_gpr_idx_off                                          // 000000002D68: BF9C0000
	s_mul_i32 s48, 64, s48                                     // 000000002D6C: 923030C0
	s_add_u32 s48, s22, s48                                    // 000000002D70: 80303016
	v_writelane_b32 v23, s48, 0                                // 000000002D74: D28A0017 00010030
	s_mov_b32 s22, s38                                         // 000000002D7C: BE960026
	s_cmp_eq_u32 s38, -1                                       // 000000002D80: BF06C126
	s_cselect_b32 s21, 1, 0                                    // 000000002D84: 85158081
	s_cbranch_scc0 label_0469                                  // 000000002D88: BF840006
	s_add_u32 s54, s21, s54                                    // 000000002D8C: 80363615
	s_mov_b32 s22, s39                                         // 000000002D90: BE960027
	s_cmp_eq_u32 s39, -1                                       // 000000002D94: BF06C127
	s_cselect_b32 s21, 1, 0                                    // 000000002D98: 85158081
	s_cbranch_scc0 label_0469                                  // 000000002D9C: BF840001
	s_add_u32 s54, s21, s54                                    // 000000002DA0: 80363615

0000000000002da4 <label_0469>:
	s_set_gpr_idx_on s54, gpr_idx(DST)                         // 000000002DA4: BF110836
	v_writelane_b32 v19, 0, s22                                // 000000002DA8: D28A0013 00002C80
	s_set_gpr_idx_off                                          // 000000002DB0: BF9C0000
	s_mul_i32 s54, 64, s54                                     // 000000002DB4: 923636C0
	s_add_u32 s54, s22, s54                                    // 000000002DB8: 80363616
	v_writelane_b32 v24, s54, 0                                // 000000002DBC: D28A0018 00010036
	s_mov_b32 s22, s40                                         // 000000002DC4: BE960028
	s_cmp_eq_u32 s40, -1                                       // 000000002DC8: BF06C128
	s_cselect_b32 s21, 1, 0                                    // 000000002DCC: 85158081
	s_cbranch_scc0 label_047B                                  // 000000002DD0: BF840006
	s_add_u32 s60, s21, s60                                    // 000000002DD4: 803C3C15
	s_mov_b32 s22, s41                                         // 000000002DD8: BE960029
	s_cmp_eq_u32 s41, -1                                       // 000000002DDC: BF06C129
	s_cselect_b32 s21, 1, 0                                    // 000000002DE0: 85158081
	s_cbranch_scc0 label_047B                                  // 000000002DE4: BF840001
	s_add_u32 s60, s21, s60                                    // 000000002DE8: 803C3C15

0000000000002dec <label_047B>:
	s_set_gpr_idx_on s60, gpr_idx(DST)                         // 000000002DEC: BF11083C
	v_writelane_b32 v21, 0, s22                                // 000000002DF0: D28A0015 00002C80
	s_set_gpr_idx_off                                          // 000000002DF8: BF9C0000
	s_mul_i32 s60, 64, s60                                     // 000000002DFC: 923C3CC0
	s_add_u32 s60, s22, s60                                    // 000000002E00: 803C3C16
	v_writelane_b32 v25, s60, 0                                // 000000002E04: D28A0019 0001003C
	v_max_f32_e32 v35, v17, v18                                // 000000002E0C: 16462511
	v_max_f32_e32 v36, v19, v20                                // 000000002E10: 16482913
	v_max_f32_e32 v37, v21, v22                                // 000000002E14: 164A2D15
	v_max_f32_dpp v4, v35, v35 quad_perm:[1,0,3,2] row_mask:0xf bank_mask:0xf// 000000002E18: 160846FA FF00B123
	v_max_f32_dpp v5, v36, v36 quad_perm:[1,0,3,2] row_mask:0xf bank_mask:0xf// 000000002E20: 160A48FA FF00B124
	v_max_f32_dpp v6, v37, v37 quad_perm:[1,0,3,2] row_mask:0xf bank_mask:0xf// 000000002E28: 160C4AFA FF00B125
	v_max_f32_dpp v4, v4, v4 quad_perm:[2,3,0,1] row_mask:0xf bank_mask:0xf// 000000002E30: 160808FA FF004E04
	v_max_f32_dpp v5, v5, v5 quad_perm:[2,3,0,1] row_mask:0xf bank_mask:0xf// 000000002E38: 160A0AFA FF004E05
	v_max_f32_dpp v6, v6, v6 quad_perm:[2,3,0,1] row_mask:0xf bank_mask:0xf// 000000002E40: 160C0CFA FF004E06
	v_max_f32_dpp v4, v4, v4 row_shr:4 row_mask:0xf bank_mask:0xf// 000000002E48: 160808FA FF011404
	v_max_f32_dpp v5, v5, v5 row_shr:4 row_mask:0xf bank_mask:0xf// 000000002E50: 160A0AFA FF011405
	v_max_f32_dpp v6, v6, v6 row_shr:4 row_mask:0xf bank_mask:0xf// 000000002E58: 160C0CFA FF011406
	v_max_f32_dpp v4, v4, v4 row_shr:8 row_mask:0xf bank_mask:0xf// 000000002E60: 160808FA FF011804
	v_max_f32_dpp v5, v5, v5 row_shr:8 row_mask:0xf bank_mask:0xf// 000000002E68: 160A0AFA FF011805
	v_max_f32_dpp v6, v6, v6 row_shr:8 row_mask:0xf bank_mask:0xf// 000000002E70: 160C0CFA FF011806
	v_max_f32_dpp v4, v4, v4 row_bcast:15 row_mask:0xf bank_mask:0xf// 000000002E78: 160808FA FF014204
	v_max_f32_dpp v5, v5, v5 row_bcast:15 row_mask:0xf bank_mask:0xf// 000000002E80: 160A0AFA FF014205
	v_max_f32_dpp v6, v6, v6 row_bcast:15 row_mask:0xf bank_mask:0xf// 000000002E88: 160C0CFA FF014206
	v_max_f32_dpp v4, v4, v4 row_bcast:31 row_mask:0xf bank_mask:0xf// 000000002E90: 160808FA FF014304
	v_max_f32_dpp v5, v5, v5 row_bcast:31 row_mask:0xf bank_mask:0xf// 000000002E98: 160A0AFA FF014305
	v_max_f32_dpp v6, v6, v6 row_bcast:31 row_mask:0xf bank_mask:0xf// 000000002EA0: 160C0CFA FF014306
	v_readlane_b32 s20, v4, 63                                 // 000000002EA8: D2890014 00017F04
	v_mov_b32_e32 v35, s20                                     // 000000002EB0: 7E460214
	v_readlane_b32 s21, v5, 63                                 // 000000002EB4: D2890015 00017F05
	v_mov_b32_e32 v36, s21                                     // 000000002EBC: 7E480215
	v_readlane_b32 s22, v6, 63                                 // 000000002EC0: D2890016 00017F06
	v_mov_b32_e32 v37, s22                                     // 000000002EC8: 7E4A0216
	v_add_f32_e32 v41, v41, v35                                // 000000002ECC: 02524729
	v_add_f32_e32 v42, v42, v36                                // 000000002ED0: 0254492A
	v_add_f32_e32 v43, v43, v37                                // 000000002ED4: 02564B2B
	v_cmp_eq_f32_e64 s[24:25], v35, v17                        // 000000002ED8: D0420018 00022323
	v_cmp_eq_f32_e64 s[26:27], v35, v18                        // 000000002EE0: D042001A 00022523
	s_ff1_i32_b64 s36, s[24:25]                                // 000000002EE8: BEA41118
	s_ff1_i32_b64 s37, s[26:27]                                // 000000002EEC: BEA5111A
	v_cmp_eq_f32_e64 s[28:29], v36, v19                        // 000000002EF0: D042001C 00022724
	v_cmp_eq_f32_e64 s[30:31], v36, v20                        // 000000002EF8: D042001E 00022924
	s_ff1_i32_b64 s38, s[28:29]                                // 000000002F00: BEA6111C
	s_ff1_i32_b64 s39, s[30:31]                                // 000000002F04: BEA7111E
	v_cmp_eq_f32_e64 s[32:33], v37, v21                        // 000000002F08: D0420020 00022B25
	v_cmp_eq_f32_e64 s[34:35], v37, v22                        // 000000002F10: D0420022 00022D25
	s_ff1_i32_b64 s40, s[32:33]                                // 000000002F18: BEA81120
	s_ff1_i32_b64 s41, s[34:35]                                // 000000002F1C: BEA91122
	v_readlane_b32 s20, v35, 0                                 // 000000002F20: D2890014 00010123
	v_writelane_b32 v26, s20, 1                                // 000000002F28: D28A001A 00010214
	v_readlane_b32 s21, v36, 0                                 // 000000002F30: D2890015 00010124
	v_writelane_b32 v27, s21, 1                                // 000000002F38: D28A001B 00010215
	v_readlane_b32 s22, v37, 0                                 // 000000002F40: D2890016 00010125
	v_writelane_b32 v28, s22, 1                                // 000000002F48: D28A001C 00010216
	s_mov_b32 s22, s36                                         // 000000002F50: BE960024
	s_cmp_eq_u32 s36, -1                                       // 000000002F54: BF06C124
	s_cselect_b32 s21, 1, 0                                    // 000000002F58: 85158081
	s_cbranch_scc0 label_04DE                                  // 000000002F5C: BF840006
	s_add_u32 s49, s21, s49                                    // 000000002F60: 80313115
	s_mov_b32 s22, s37                                         // 000000002F64: BE960025
	s_cmp_eq_u32 s37, -1                                       // 000000002F68: BF06C125
	s_cselect_b32 s21, 1, 0                                    // 000000002F6C: 85158081
	s_cbranch_scc0 label_04DE                                  // 000000002F70: BF840001
	s_add_u32 s49, s21, s49                                    // 000000002F74: 80313115

0000000000002f78 <label_04DE>:
	s_set_gpr_idx_on s49, gpr_idx(DST)                         // 000000002F78: BF110831
	v_writelane_b32 v17, 0, s22                                // 000000002F7C: D28A0011 00002C80
	s_set_gpr_idx_off                                          // 000000002F84: BF9C0000
	s_mul_i32 s49, 64, s49                                     // 000000002F88: 923131C0
	s_add_u32 s49, s22, s49                                    // 000000002F8C: 80313116
	v_writelane_b32 v23, s49, 1                                // 000000002F90: D28A0017 00010231
	s_mov_b32 s22, s38                                         // 000000002F98: BE960026
	s_cmp_eq_u32 s38, -1                                       // 000000002F9C: BF06C126
	s_cselect_b32 s21, 1, 0                                    // 000000002FA0: 85158081
	s_cbranch_scc0 label_04F0                                  // 000000002FA4: BF840006
	s_add_u32 s55, s21, s55                                    // 000000002FA8: 80373715
	s_mov_b32 s22, s39                                         // 000000002FAC: BE960027
	s_cmp_eq_u32 s39, -1                                       // 000000002FB0: BF06C127
	s_cselect_b32 s21, 1, 0                                    // 000000002FB4: 85158081
	s_cbranch_scc0 label_04F0                                  // 000000002FB8: BF840001
	s_add_u32 s55, s21, s55                                    // 000000002FBC: 80373715

0000000000002fc0 <label_04F0>:
	s_set_gpr_idx_on s55, gpr_idx(DST)                         // 000000002FC0: BF110837
	v_writelane_b32 v19, 0, s22                                // 000000002FC4: D28A0013 00002C80
	s_set_gpr_idx_off                                          // 000000002FCC: BF9C0000
	s_mul_i32 s55, 64, s55                                     // 000000002FD0: 923737C0
	s_add_u32 s55, s22, s55                                    // 000000002FD4: 80373716
	v_writelane_b32 v24, s55, 1                                // 000000002FD8: D28A0018 00010237
	s_mov_b32 s22, s40                                         // 000000002FE0: BE960028
	s_cmp_eq_u32 s40, -1                                       // 000000002FE4: BF06C128
	s_cselect_b32 s21, 1, 0                                    // 000000002FE8: 85158081
	s_cbranch_scc0 label_0502                                  // 000000002FEC: BF840006
	s_add_u32 s61, s21, s61                                    // 000000002FF0: 803D3D15
	s_mov_b32 s22, s41                                         // 000000002FF4: BE960029
	s_cmp_eq_u32 s41, -1                                       // 000000002FF8: BF06C129
	s_cselect_b32 s21, 1, 0                                    // 000000002FFC: 85158081
	s_cbranch_scc0 label_0502                                  // 000000003000: BF840001
	s_add_u32 s61, s21, s61                                    // 000000003004: 803D3D15

0000000000003008 <label_0502>:
	s_set_gpr_idx_on s61, gpr_idx(DST)                         // 000000003008: BF11083D
	v_writelane_b32 v21, 0, s22                                // 00000000300C: D28A0015 00002C80
	s_set_gpr_idx_off                                          // 000000003014: BF9C0000
	s_mul_i32 s61, 64, s61                                     // 000000003018: 923D3DC0
	s_add_u32 s61, s22, s61                                    // 00000000301C: 803D3D16
	v_writelane_b32 v25, s61, 1                                // 000000003020: D28A0019 0001023D
	v_max_f32_e32 v35, v17, v18                                // 000000003028: 16462511
	v_max_f32_e32 v36, v19, v20                                // 00000000302C: 16482913
	v_max_f32_e32 v37, v21, v22                                // 000000003030: 164A2D15
	v_max_f32_dpp v4, v35, v35 quad_perm:[1,0,3,2] row_mask:0xf bank_mask:0xf// 000000003034: 160846FA FF00B123
	v_max_f32_dpp v5, v36, v36 quad_perm:[1,0,3,2] row_mask:0xf bank_mask:0xf// 00000000303C: 160A48FA FF00B124
	v_max_f32_dpp v6, v37, v37 quad_perm:[1,0,3,2] row_mask:0xf bank_mask:0xf// 000000003044: 160C4AFA FF00B125
	v_max_f32_dpp v4, v4, v4 quad_perm:[2,3,0,1] row_mask:0xf bank_mask:0xf// 00000000304C: 160808FA FF004E04
	v_max_f32_dpp v5, v5, v5 quad_perm:[2,3,0,1] row_mask:0xf bank_mask:0xf// 000000003054: 160A0AFA FF004E05
	v_max_f32_dpp v6, v6, v6 quad_perm:[2,3,0,1] row_mask:0xf bank_mask:0xf// 00000000305C: 160C0CFA FF004E06
	v_max_f32_dpp v4, v4, v4 row_shr:4 row_mask:0xf bank_mask:0xf// 000000003064: 160808FA FF011404
	v_max_f32_dpp v5, v5, v5 row_shr:4 row_mask:0xf bank_mask:0xf// 00000000306C: 160A0AFA FF011405
	v_max_f32_dpp v6, v6, v6 row_shr:4 row_mask:0xf bank_mask:0xf// 000000003074: 160C0CFA FF011406
	v_max_f32_dpp v4, v4, v4 row_shr:8 row_mask:0xf bank_mask:0xf// 00000000307C: 160808FA FF011804
	v_max_f32_dpp v5, v5, v5 row_shr:8 row_mask:0xf bank_mask:0xf// 000000003084: 160A0AFA FF011805
	v_max_f32_dpp v6, v6, v6 row_shr:8 row_mask:0xf bank_mask:0xf// 00000000308C: 160C0CFA FF011806
	v_max_f32_dpp v4, v4, v4 row_bcast:15 row_mask:0xf bank_mask:0xf// 000000003094: 160808FA FF014204
	v_max_f32_dpp v5, v5, v5 row_bcast:15 row_mask:0xf bank_mask:0xf// 00000000309C: 160A0AFA FF014205
	v_max_f32_dpp v6, v6, v6 row_bcast:15 row_mask:0xf bank_mask:0xf// 0000000030A4: 160C0CFA FF014206
	v_max_f32_dpp v4, v4, v4 row_bcast:31 row_mask:0xf bank_mask:0xf// 0000000030AC: 160808FA FF014304
	v_max_f32_dpp v5, v5, v5 row_bcast:31 row_mask:0xf bank_mask:0xf// 0000000030B4: 160A0AFA FF014305
	v_max_f32_dpp v6, v6, v6 row_bcast:31 row_mask:0xf bank_mask:0xf// 0000000030BC: 160C0CFA FF014306
	v_readlane_b32 s20, v4, 63                                 // 0000000030C4: D2890014 00017F04
	v_mov_b32_e32 v35, s20                                     // 0000000030CC: 7E460214
	v_readlane_b32 s21, v5, 63                                 // 0000000030D0: D2890015 00017F05
	v_mov_b32_e32 v36, s21                                     // 0000000030D8: 7E480215
	v_readlane_b32 s22, v6, 63                                 // 0000000030DC: D2890016 00017F06
	v_mov_b32_e32 v37, s22                                     // 0000000030E4: 7E4A0216
	v_add_f32_e32 v41, v41, v35                                // 0000000030E8: 02524729
	v_add_f32_e32 v42, v42, v36                                // 0000000030EC: 0254492A
	v_add_f32_e32 v43, v43, v37                                // 0000000030F0: 02564B2B
	v_cmp_eq_f32_e64 s[24:25], v35, v17                        // 0000000030F4: D0420018 00022323
	v_cmp_eq_f32_e64 s[26:27], v35, v18                        // 0000000030FC: D042001A 00022523
	s_ff1_i32_b64 s36, s[24:25]                                // 000000003104: BEA41118
	s_ff1_i32_b64 s37, s[26:27]                                // 000000003108: BEA5111A
	v_cmp_eq_f32_e64 s[28:29], v36, v19                        // 00000000310C: D042001C 00022724
	v_cmp_eq_f32_e64 s[30:31], v36, v20                        // 000000003114: D042001E 00022924
	s_ff1_i32_b64 s38, s[28:29]                                // 00000000311C: BEA6111C
	s_ff1_i32_b64 s39, s[30:31]                                // 000000003120: BEA7111E
	v_cmp_eq_f32_e64 s[32:33], v37, v21                        // 000000003124: D0420020 00022B25
	v_cmp_eq_f32_e64 s[34:35], v37, v22                        // 00000000312C: D0420022 00022D25
	s_ff1_i32_b64 s40, s[32:33]                                // 000000003134: BEA81120
	s_ff1_i32_b64 s41, s[34:35]                                // 000000003138: BEA91122
	v_readlane_b32 s20, v35, 0                                 // 00000000313C: D2890014 00010123
	v_writelane_b32 v26, s20, 2                                // 000000003144: D28A001A 00010414
	v_readlane_b32 s21, v36, 0                                 // 00000000314C: D2890015 00010124
	v_writelane_b32 v27, s21, 2                                // 000000003154: D28A001B 00010415
	v_readlane_b32 s22, v37, 0                                 // 00000000315C: D2890016 00010125
	v_writelane_b32 v28, s22, 2                                // 000000003164: D28A001C 00010416
	s_mov_b32 s22, s36                                         // 00000000316C: BE960024
	s_cmp_eq_u32 s36, -1                                       // 000000003170: BF06C124
	s_cselect_b32 s21, 1, 0                                    // 000000003174: 85158081
	s_cbranch_scc0 label_0565                                  // 000000003178: BF840006
	s_add_u32 s50, s21, s50                                    // 00000000317C: 80323215
	s_mov_b32 s22, s37                                         // 000000003180: BE960025
	s_cmp_eq_u32 s37, -1                                       // 000000003184: BF06C125
	s_cselect_b32 s21, 1, 0                                    // 000000003188: 85158081
	s_cbranch_scc0 label_0565                                  // 00000000318C: BF840001
	s_add_u32 s50, s21, s50                                    // 000000003190: 80323215

0000000000003194 <label_0565>:
	s_set_gpr_idx_on s50, gpr_idx(DST)                         // 000000003194: BF110832
	v_writelane_b32 v17, 0, s22                                // 000000003198: D28A0011 00002C80
	s_set_gpr_idx_off                                          // 0000000031A0: BF9C0000
	s_mul_i32 s50, 64, s50                                     // 0000000031A4: 923232C0
	s_add_u32 s50, s22, s50                                    // 0000000031A8: 80323216
	v_writelane_b32 v23, s50, 2                                // 0000000031AC: D28A0017 00010432
	s_mov_b32 s22, s38                                         // 0000000031B4: BE960026
	s_cmp_eq_u32 s38, -1                                       // 0000000031B8: BF06C126
	s_cselect_b32 s21, 1, 0                                    // 0000000031BC: 85158081
	s_cbranch_scc0 label_0577                                  // 0000000031C0: BF840006
	s_add_u32 s56, s21, s56                                    // 0000000031C4: 80383815
	s_mov_b32 s22, s39                                         // 0000000031C8: BE960027
	s_cmp_eq_u32 s39, -1                                       // 0000000031CC: BF06C127
	s_cselect_b32 s21, 1, 0                                    // 0000000031D0: 85158081
	s_cbranch_scc0 label_0577                                  // 0000000031D4: BF840001
	s_add_u32 s56, s21, s56                                    // 0000000031D8: 80383815

00000000000031dc <label_0577>:
	s_set_gpr_idx_on s56, gpr_idx(DST)                         // 0000000031DC: BF110838
	v_writelane_b32 v19, 0, s22                                // 0000000031E0: D28A0013 00002C80
	s_set_gpr_idx_off                                          // 0000000031E8: BF9C0000
	s_mul_i32 s56, 64, s56                                     // 0000000031EC: 923838C0
	s_add_u32 s56, s22, s56                                    // 0000000031F0: 80383816
	v_writelane_b32 v24, s56, 2                                // 0000000031F4: D28A0018 00010438
	s_mov_b32 s22, s40                                         // 0000000031FC: BE960028
	s_cmp_eq_u32 s40, -1                                       // 000000003200: BF06C128
	s_cselect_b32 s21, 1, 0                                    // 000000003204: 85158081
	s_cbranch_scc0 label_0589                                  // 000000003208: BF840006
	s_add_u32 s62, s21, s62                                    // 00000000320C: 803E3E15
	s_mov_b32 s22, s41                                         // 000000003210: BE960029
	s_cmp_eq_u32 s41, -1                                       // 000000003214: BF06C129
	s_cselect_b32 s21, 1, 0                                    // 000000003218: 85158081
	s_cbranch_scc0 label_0589                                  // 00000000321C: BF840001
	s_add_u32 s62, s21, s62                                    // 000000003220: 803E3E15

0000000000003224 <label_0589>:
	s_set_gpr_idx_on s62, gpr_idx(DST)                         // 000000003224: BF11083E
	v_writelane_b32 v21, 0, s22                                // 000000003228: D28A0015 00002C80
	s_set_gpr_idx_off                                          // 000000003230: BF9C0000
	s_mul_i32 s62, 64, s62                                     // 000000003234: 923E3EC0
	s_add_u32 s62, s22, s62                                    // 000000003238: 803E3E16
	v_writelane_b32 v25, s62, 2                                // 00000000323C: D28A0019 0001043E
	v_max_f32_e32 v35, v17, v18                                // 000000003244: 16462511
	v_max_f32_e32 v36, v19, v20                                // 000000003248: 16482913
	v_max_f32_e32 v37, v21, v22                                // 00000000324C: 164A2D15
	v_max_f32_dpp v4, v35, v35 quad_perm:[1,0,3,2] row_mask:0xf bank_mask:0xf// 000000003250: 160846FA FF00B123
	v_max_f32_dpp v5, v36, v36 quad_perm:[1,0,3,2] row_mask:0xf bank_mask:0xf// 000000003258: 160A48FA FF00B124
	v_max_f32_dpp v6, v37, v37 quad_perm:[1,0,3,2] row_mask:0xf bank_mask:0xf// 000000003260: 160C4AFA FF00B125
	v_max_f32_dpp v4, v4, v4 quad_perm:[2,3,0,1] row_mask:0xf bank_mask:0xf// 000000003268: 160808FA FF004E04
	v_max_f32_dpp v5, v5, v5 quad_perm:[2,3,0,1] row_mask:0xf bank_mask:0xf// 000000003270: 160A0AFA FF004E05
	v_max_f32_dpp v6, v6, v6 quad_perm:[2,3,0,1] row_mask:0xf bank_mask:0xf// 000000003278: 160C0CFA FF004E06
	v_max_f32_dpp v4, v4, v4 row_shr:4 row_mask:0xf bank_mask:0xf// 000000003280: 160808FA FF011404
	v_max_f32_dpp v5, v5, v5 row_shr:4 row_mask:0xf bank_mask:0xf// 000000003288: 160A0AFA FF011405
	v_max_f32_dpp v6, v6, v6 row_shr:4 row_mask:0xf bank_mask:0xf// 000000003290: 160C0CFA FF011406
	v_max_f32_dpp v4, v4, v4 row_shr:8 row_mask:0xf bank_mask:0xf// 000000003298: 160808FA FF011804
	v_max_f32_dpp v5, v5, v5 row_shr:8 row_mask:0xf bank_mask:0xf// 0000000032A0: 160A0AFA FF011805
	v_max_f32_dpp v6, v6, v6 row_shr:8 row_mask:0xf bank_mask:0xf// 0000000032A8: 160C0CFA FF011806
	v_max_f32_dpp v4, v4, v4 row_bcast:15 row_mask:0xf bank_mask:0xf// 0000000032B0: 160808FA FF014204
	v_max_f32_dpp v5, v5, v5 row_bcast:15 row_mask:0xf bank_mask:0xf// 0000000032B8: 160A0AFA FF014205
	v_max_f32_dpp v6, v6, v6 row_bcast:15 row_mask:0xf bank_mask:0xf// 0000000032C0: 160C0CFA FF014206
	v_max_f32_dpp v4, v4, v4 row_bcast:31 row_mask:0xf bank_mask:0xf// 0000000032C8: 160808FA FF014304
	v_max_f32_dpp v5, v5, v5 row_bcast:31 row_mask:0xf bank_mask:0xf// 0000000032D0: 160A0AFA FF014305
	v_max_f32_dpp v6, v6, v6 row_bcast:31 row_mask:0xf bank_mask:0xf// 0000000032D8: 160C0CFA FF014306
	v_readlane_b32 s20, v4, 63                                 // 0000000032E0: D2890014 00017F04
	v_mov_b32_e32 v35, s20                                     // 0000000032E8: 7E460214
	v_readlane_b32 s21, v5, 63                                 // 0000000032EC: D2890015 00017F05
	v_mov_b32_e32 v36, s21                                     // 0000000032F4: 7E480215
	v_readlane_b32 s22, v6, 63                                 // 0000000032F8: D2890016 00017F06
	v_mov_b32_e32 v37, s22                                     // 000000003300: 7E4A0216
	v_add_f32_e32 v41, v41, v35                                // 000000003304: 02524729
	v_add_f32_e32 v42, v42, v36                                // 000000003308: 0254492A
	v_add_f32_e32 v43, v43, v37                                // 00000000330C: 02564B2B
	v_cmp_eq_f32_e64 s[24:25], v35, v17                        // 000000003310: D0420018 00022323
	v_cmp_eq_f32_e64 s[26:27], v35, v18                        // 000000003318: D042001A 00022523
	s_ff1_i32_b64 s36, s[24:25]                                // 000000003320: BEA41118
	s_ff1_i32_b64 s37, s[26:27]                                // 000000003324: BEA5111A
	v_cmp_eq_f32_e64 s[28:29], v36, v19                        // 000000003328: D042001C 00022724
	v_cmp_eq_f32_e64 s[30:31], v36, v20                        // 000000003330: D042001E 00022924
	s_ff1_i32_b64 s38, s[28:29]                                // 000000003338: BEA6111C
	s_ff1_i32_b64 s39, s[30:31]                                // 00000000333C: BEA7111E
	v_cmp_eq_f32_e64 s[32:33], v37, v21                        // 000000003340: D0420020 00022B25
	v_cmp_eq_f32_e64 s[34:35], v37, v22                        // 000000003348: D0420022 00022D25
	s_ff1_i32_b64 s40, s[32:33]                                // 000000003350: BEA81120
	s_ff1_i32_b64 s41, s[34:35]                                // 000000003354: BEA91122
	v_readlane_b32 s20, v35, 0                                 // 000000003358: D2890014 00010123
	v_writelane_b32 v26, s20, 3                                // 000000003360: D28A001A 00010614
	v_readlane_b32 s21, v36, 0                                 // 000000003368: D2890015 00010124
	v_writelane_b32 v27, s21, 3                                // 000000003370: D28A001B 00010615
	v_readlane_b32 s22, v37, 0                                 // 000000003378: D2890016 00010125
	v_writelane_b32 v28, s22, 3                                // 000000003380: D28A001C 00010616
	s_mov_b32 s22, s36                                         // 000000003388: BE960024
	s_cmp_eq_u32 s36, -1                                       // 00000000338C: BF06C124
	s_cselect_b32 s21, 1, 0                                    // 000000003390: 85158081
	s_cbranch_scc0 label_05EC                                  // 000000003394: BF840006
	s_add_u32 s51, s21, s51                                    // 000000003398: 80333315
	s_mov_b32 s22, s37                                         // 00000000339C: BE960025
	s_cmp_eq_u32 s37, -1                                       // 0000000033A0: BF06C125
	s_cselect_b32 s21, 1, 0                                    // 0000000033A4: 85158081
	s_cbranch_scc0 label_05EC                                  // 0000000033A8: BF840001
	s_add_u32 s51, s21, s51                                    // 0000000033AC: 80333315

00000000000033b0 <label_05EC>:
	s_set_gpr_idx_on s51, gpr_idx(DST)                         // 0000000033B0: BF110833
	v_writelane_b32 v17, 0, s22                                // 0000000033B4: D28A0011 00002C80
	s_set_gpr_idx_off                                          // 0000000033BC: BF9C0000
	s_mul_i32 s51, 64, s51                                     // 0000000033C0: 923333C0
	s_add_u32 s51, s22, s51                                    // 0000000033C4: 80333316
	v_writelane_b32 v23, s51, 3                                // 0000000033C8: D28A0017 00010633
	s_mov_b32 s22, s38                                         // 0000000033D0: BE960026
	s_cmp_eq_u32 s38, -1                                       // 0000000033D4: BF06C126
	s_cselect_b32 s21, 1, 0                                    // 0000000033D8: 85158081
	s_cbranch_scc0 label_05FE                                  // 0000000033DC: BF840006
	s_add_u32 s57, s21, s57                                    // 0000000033E0: 80393915
	s_mov_b32 s22, s39                                         // 0000000033E4: BE960027
	s_cmp_eq_u32 s39, -1                                       // 0000000033E8: BF06C127
	s_cselect_b32 s21, 1, 0                                    // 0000000033EC: 85158081
	s_cbranch_scc0 label_05FE                                  // 0000000033F0: BF840001
	s_add_u32 s57, s21, s57                                    // 0000000033F4: 80393915

00000000000033f8 <label_05FE>:
	s_set_gpr_idx_on s57, gpr_idx(DST)                         // 0000000033F8: BF110839
	v_writelane_b32 v19, 0, s22                                // 0000000033FC: D28A0013 00002C80
	s_set_gpr_idx_off                                          // 000000003404: BF9C0000
	s_mul_i32 s57, 64, s57                                     // 000000003408: 923939C0
	s_add_u32 s57, s22, s57                                    // 00000000340C: 80393916
	v_writelane_b32 v24, s57, 3                                // 000000003410: D28A0018 00010639
	s_mov_b32 s22, s40                                         // 000000003418: BE960028
	s_cmp_eq_u32 s40, -1                                       // 00000000341C: BF06C128
	s_cselect_b32 s21, 1, 0                                    // 000000003420: 85158081
	s_cbranch_scc0 label_0610                                  // 000000003424: BF840006
	s_add_u32 s63, s21, s63                                    // 000000003428: 803F3F15
	s_mov_b32 s22, s41                                         // 00000000342C: BE960029
	s_cmp_eq_u32 s41, -1                                       // 000000003430: BF06C129
	s_cselect_b32 s21, 1, 0                                    // 000000003434: 85158081
	s_cbranch_scc0 label_0610                                  // 000000003438: BF840001
	s_add_u32 s63, s21, s63                                    // 00000000343C: 803F3F15

0000000000003440 <label_0610>:
	s_set_gpr_idx_on s63, gpr_idx(DST)                         // 000000003440: BF11083F
	v_writelane_b32 v21, 0, s22                                // 000000003444: D28A0015 00002C80
	s_set_gpr_idx_off                                          // 00000000344C: BF9C0000
	s_mul_i32 s63, 64, s63                                     // 000000003450: 923F3FC0
	s_add_u32 s63, s22, s63                                    // 000000003454: 803F3F16
	v_writelane_b32 v25, s63, 3                                // 000000003458: D28A0019 0001063F
	v_max_f32_e32 v35, v17, v18                                // 000000003460: 16462511
	v_max_f32_e32 v36, v19, v20                                // 000000003464: 16482913
	v_max_f32_e32 v37, v21, v22                                // 000000003468: 164A2D15
	v_max_f32_dpp v4, v35, v35 quad_perm:[1,0,3,2] row_mask:0xf bank_mask:0xf// 00000000346C: 160846FA FF00B123
	v_max_f32_dpp v5, v36, v36 quad_perm:[1,0,3,2] row_mask:0xf bank_mask:0xf// 000000003474: 160A48FA FF00B124
	v_max_f32_dpp v6, v37, v37 quad_perm:[1,0,3,2] row_mask:0xf bank_mask:0xf// 00000000347C: 160C4AFA FF00B125
	v_max_f32_dpp v4, v4, v4 quad_perm:[2,3,0,1] row_mask:0xf bank_mask:0xf// 000000003484: 160808FA FF004E04
	v_max_f32_dpp v5, v5, v5 quad_perm:[2,3,0,1] row_mask:0xf bank_mask:0xf// 00000000348C: 160A0AFA FF004E05
	v_max_f32_dpp v6, v6, v6 quad_perm:[2,3,0,1] row_mask:0xf bank_mask:0xf// 000000003494: 160C0CFA FF004E06
	v_max_f32_dpp v4, v4, v4 row_shr:4 row_mask:0xf bank_mask:0xf// 00000000349C: 160808FA FF011404
	v_max_f32_dpp v5, v5, v5 row_shr:4 row_mask:0xf bank_mask:0xf// 0000000034A4: 160A0AFA FF011405
	v_max_f32_dpp v6, v6, v6 row_shr:4 row_mask:0xf bank_mask:0xf// 0000000034AC: 160C0CFA FF011406
	v_max_f32_dpp v4, v4, v4 row_shr:8 row_mask:0xf bank_mask:0xf// 0000000034B4: 160808FA FF011804
	v_max_f32_dpp v5, v5, v5 row_shr:8 row_mask:0xf bank_mask:0xf// 0000000034BC: 160A0AFA FF011805
	v_max_f32_dpp v6, v6, v6 row_shr:8 row_mask:0xf bank_mask:0xf// 0000000034C4: 160C0CFA FF011806
	v_max_f32_dpp v4, v4, v4 row_bcast:15 row_mask:0xf bank_mask:0xf// 0000000034CC: 160808FA FF014204
	v_max_f32_dpp v5, v5, v5 row_bcast:15 row_mask:0xf bank_mask:0xf// 0000000034D4: 160A0AFA FF014205
	v_max_f32_dpp v6, v6, v6 row_bcast:15 row_mask:0xf bank_mask:0xf// 0000000034DC: 160C0CFA FF014206
	v_max_f32_dpp v4, v4, v4 row_bcast:31 row_mask:0xf bank_mask:0xf// 0000000034E4: 160808FA FF014304
	v_max_f32_dpp v5, v5, v5 row_bcast:31 row_mask:0xf bank_mask:0xf// 0000000034EC: 160A0AFA FF014305
	v_max_f32_dpp v6, v6, v6 row_bcast:31 row_mask:0xf bank_mask:0xf// 0000000034F4: 160C0CFA FF014306
	v_readlane_b32 s20, v4, 63                                 // 0000000034FC: D2890014 00017F04
	v_mov_b32_e32 v35, s20                                     // 000000003504: 7E460214
	v_readlane_b32 s21, v5, 63                                 // 000000003508: D2890015 00017F05
	v_mov_b32_e32 v36, s21                                     // 000000003510: 7E480215
	v_readlane_b32 s22, v6, 63                                 // 000000003514: D2890016 00017F06
	v_mov_b32_e32 v37, s22                                     // 00000000351C: 7E4A0216
	v_add_f32_e32 v41, v41, v35                                // 000000003520: 02524729
	v_add_f32_e32 v42, v42, v36                                // 000000003524: 0254492A
	v_add_f32_e32 v43, v43, v37                                // 000000003528: 02564B2B
	v_cmp_eq_f32_e64 s[24:25], v35, v17                        // 00000000352C: D0420018 00022323
	v_cmp_eq_f32_e64 s[26:27], v35, v18                        // 000000003534: D042001A 00022523
	s_ff1_i32_b64 s36, s[24:25]                                // 00000000353C: BEA41118
	s_ff1_i32_b64 s37, s[26:27]                                // 000000003540: BEA5111A
	v_cmp_eq_f32_e64 s[28:29], v36, v19                        // 000000003544: D042001C 00022724
	v_cmp_eq_f32_e64 s[30:31], v36, v20                        // 00000000354C: D042001E 00022924
	s_ff1_i32_b64 s38, s[28:29]                                // 000000003554: BEA6111C
	s_ff1_i32_b64 s39, s[30:31]                                // 000000003558: BEA7111E
	v_cmp_eq_f32_e64 s[32:33], v37, v21                        // 00000000355C: D0420020 00022B25
	v_cmp_eq_f32_e64 s[34:35], v37, v22                        // 000000003564: D0420022 00022D25
	s_ff1_i32_b64 s40, s[32:33]                                // 00000000356C: BEA81120
	s_ff1_i32_b64 s41, s[34:35]                                // 000000003570: BEA91122
	v_readlane_b32 s20, v35, 0                                 // 000000003574: D2890014 00010123
	v_writelane_b32 v26, s20, 4                                // 00000000357C: D28A001A 00010814
	v_readlane_b32 s21, v36, 0                                 // 000000003584: D2890015 00010124
	v_writelane_b32 v27, s21, 4                                // 00000000358C: D28A001B 00010815
	v_readlane_b32 s22, v37, 0                                 // 000000003594: D2890016 00010125
	v_writelane_b32 v28, s22, 4                                // 00000000359C: D28A001C 00010816
	s_mov_b32 s22, s36                                         // 0000000035A4: BE960024
	s_cmp_eq_u32 s36, -1                                       // 0000000035A8: BF06C124
	s_cselect_b32 s21, 1, 0                                    // 0000000035AC: 85158081
	s_cbranch_scc0 label_0673                                  // 0000000035B0: BF840006
	s_add_u32 s52, s21, s52                                    // 0000000035B4: 80343415
	s_mov_b32 s22, s37                                         // 0000000035B8: BE960025
	s_cmp_eq_u32 s37, -1                                       // 0000000035BC: BF06C125
	s_cselect_b32 s21, 1, 0                                    // 0000000035C0: 85158081
	s_cbranch_scc0 label_0673                                  // 0000000035C4: BF840001
	s_add_u32 s52, s21, s52                                    // 0000000035C8: 80343415

00000000000035cc <label_0673>:
	s_set_gpr_idx_on s52, gpr_idx(DST)                         // 0000000035CC: BF110834
	v_writelane_b32 v17, 0, s22                                // 0000000035D0: D28A0011 00002C80
	s_set_gpr_idx_off                                          // 0000000035D8: BF9C0000
	s_mul_i32 s52, 64, s52                                     // 0000000035DC: 923434C0
	s_add_u32 s52, s22, s52                                    // 0000000035E0: 80343416
	v_writelane_b32 v23, s52, 4                                // 0000000035E4: D28A0017 00010834
	s_mov_b32 s22, s38                                         // 0000000035EC: BE960026
	s_cmp_eq_u32 s38, -1                                       // 0000000035F0: BF06C126
	s_cselect_b32 s21, 1, 0                                    // 0000000035F4: 85158081
	s_cbranch_scc0 label_0685                                  // 0000000035F8: BF840006
	s_add_u32 s58, s21, s58                                    // 0000000035FC: 803A3A15
	s_mov_b32 s22, s39                                         // 000000003600: BE960027
	s_cmp_eq_u32 s39, -1                                       // 000000003604: BF06C127
	s_cselect_b32 s21, 1, 0                                    // 000000003608: 85158081
	s_cbranch_scc0 label_0685                                  // 00000000360C: BF840001
	s_add_u32 s58, s21, s58                                    // 000000003610: 803A3A15

0000000000003614 <label_0685>:
	s_set_gpr_idx_on s58, gpr_idx(DST)                         // 000000003614: BF11083A
	v_writelane_b32 v19, 0, s22                                // 000000003618: D28A0013 00002C80
	s_set_gpr_idx_off                                          // 000000003620: BF9C0000
	s_mul_i32 s58, 64, s58                                     // 000000003624: 923A3AC0
	s_add_u32 s58, s22, s58                                    // 000000003628: 803A3A16
	v_writelane_b32 v24, s58, 4                                // 00000000362C: D28A0018 0001083A
	s_mov_b32 s22, s40                                         // 000000003634: BE960028
	s_cmp_eq_u32 s40, -1                                       // 000000003638: BF06C128
	s_cselect_b32 s21, 1, 0                                    // 00000000363C: 85158081
	s_cbranch_scc0 label_0697                                  // 000000003640: BF840006
	s_add_u32 s64, s21, s64                                    // 000000003644: 80404015
	s_mov_b32 s22, s41                                         // 000000003648: BE960029
	s_cmp_eq_u32 s41, -1                                       // 00000000364C: BF06C129
	s_cselect_b32 s21, 1, 0                                    // 000000003650: 85158081
	s_cbranch_scc0 label_0697                                  // 000000003654: BF840001
	s_add_u32 s64, s21, s64                                    // 000000003658: 80404015

000000000000365c <label_0697>:
	s_set_gpr_idx_on s64, gpr_idx(DST)                         // 00000000365C: BF110840
	v_writelane_b32 v21, 0, s22                                // 000000003660: D28A0015 00002C80
	s_set_gpr_idx_off                                          // 000000003668: BF9C0000
	s_mul_i32 s64, 64, s64                                     // 00000000366C: 924040C0
	s_add_u32 s64, s22, s64                                    // 000000003670: 80404016
	v_writelane_b32 v25, s64, 4                                // 000000003674: D28A0019 00010840
	v_max_f32_e32 v35, v17, v18                                // 00000000367C: 16462511
	v_max_f32_e32 v36, v19, v20                                // 000000003680: 16482913
	v_max_f32_e32 v37, v21, v22                                // 000000003684: 164A2D15
	v_max_f32_dpp v4, v35, v35 quad_perm:[1,0,3,2] row_mask:0xf bank_mask:0xf// 000000003688: 160846FA FF00B123
	v_max_f32_dpp v5, v36, v36 quad_perm:[1,0,3,2] row_mask:0xf bank_mask:0xf// 000000003690: 160A48FA FF00B124
	v_max_f32_dpp v6, v37, v37 quad_perm:[1,0,3,2] row_mask:0xf bank_mask:0xf// 000000003698: 160C4AFA FF00B125
	v_max_f32_dpp v4, v4, v4 quad_perm:[2,3,0,1] row_mask:0xf bank_mask:0xf// 0000000036A0: 160808FA FF004E04
	v_max_f32_dpp v5, v5, v5 quad_perm:[2,3,0,1] row_mask:0xf bank_mask:0xf// 0000000036A8: 160A0AFA FF004E05
	v_max_f32_dpp v6, v6, v6 quad_perm:[2,3,0,1] row_mask:0xf bank_mask:0xf// 0000000036B0: 160C0CFA FF004E06
	v_max_f32_dpp v4, v4, v4 row_shr:4 row_mask:0xf bank_mask:0xf// 0000000036B8: 160808FA FF011404
	v_max_f32_dpp v5, v5, v5 row_shr:4 row_mask:0xf bank_mask:0xf// 0000000036C0: 160A0AFA FF011405
	v_max_f32_dpp v6, v6, v6 row_shr:4 row_mask:0xf bank_mask:0xf// 0000000036C8: 160C0CFA FF011406
	v_max_f32_dpp v4, v4, v4 row_shr:8 row_mask:0xf bank_mask:0xf// 0000000036D0: 160808FA FF011804
	v_max_f32_dpp v5, v5, v5 row_shr:8 row_mask:0xf bank_mask:0xf// 0000000036D8: 160A0AFA FF011805
	v_max_f32_dpp v6, v6, v6 row_shr:8 row_mask:0xf bank_mask:0xf// 0000000036E0: 160C0CFA FF011806
	v_max_f32_dpp v4, v4, v4 row_bcast:15 row_mask:0xf bank_mask:0xf// 0000000036E8: 160808FA FF014204
	v_max_f32_dpp v5, v5, v5 row_bcast:15 row_mask:0xf bank_mask:0xf// 0000000036F0: 160A0AFA FF014205
	v_max_f32_dpp v6, v6, v6 row_bcast:15 row_mask:0xf bank_mask:0xf// 0000000036F8: 160C0CFA FF014206
	v_max_f32_dpp v4, v4, v4 row_bcast:31 row_mask:0xf bank_mask:0xf// 000000003700: 160808FA FF014304
	v_max_f32_dpp v5, v5, v5 row_bcast:31 row_mask:0xf bank_mask:0xf// 000000003708: 160A0AFA FF014305
	v_max_f32_dpp v6, v6, v6 row_bcast:31 row_mask:0xf bank_mask:0xf// 000000003710: 160C0CFA FF014306
	v_readlane_b32 s20, v4, 63                                 // 000000003718: D2890014 00017F04
	v_mov_b32_e32 v35, s20                                     // 000000003720: 7E460214
	v_readlane_b32 s21, v5, 63                                 // 000000003724: D2890015 00017F05
	v_mov_b32_e32 v36, s21                                     // 00000000372C: 7E480215
	v_readlane_b32 s22, v6, 63                                 // 000000003730: D2890016 00017F06
	v_mov_b32_e32 v37, s22                                     // 000000003738: 7E4A0216
	v_add_f32_e32 v41, v41, v35                                // 00000000373C: 02524729
	v_add_f32_e32 v42, v42, v36                                // 000000003740: 0254492A
	v_add_f32_e32 v43, v43, v37                                // 000000003744: 02564B2B
	v_cmp_eq_f32_e64 s[24:25], v35, v17                        // 000000003748: D0420018 00022323
	v_cmp_eq_f32_e64 s[26:27], v35, v18                        // 000000003750: D042001A 00022523
	s_ff1_i32_b64 s36, s[24:25]                                // 000000003758: BEA41118
	s_ff1_i32_b64 s37, s[26:27]                                // 00000000375C: BEA5111A
	v_cmp_eq_f32_e64 s[28:29], v36, v19                        // 000000003760: D042001C 00022724
	v_cmp_eq_f32_e64 s[30:31], v36, v20                        // 000000003768: D042001E 00022924
	s_ff1_i32_b64 s38, s[28:29]                                // 000000003770: BEA6111C
	s_ff1_i32_b64 s39, s[30:31]                                // 000000003774: BEA7111E
	v_cmp_eq_f32_e64 s[32:33], v37, v21                        // 000000003778: D0420020 00022B25
	v_cmp_eq_f32_e64 s[34:35], v37, v22                        // 000000003780: D0420022 00022D25
	s_ff1_i32_b64 s40, s[32:33]                                // 000000003788: BEA81120
	s_ff1_i32_b64 s41, s[34:35]                                // 00000000378C: BEA91122
	v_readlane_b32 s20, v35, 0                                 // 000000003790: D2890014 00010123
	v_writelane_b32 v26, s20, 5                                // 000000003798: D28A001A 00010A14
	v_readlane_b32 s21, v36, 0                                 // 0000000037A0: D2890015 00010124
	v_writelane_b32 v27, s21, 5                                // 0000000037A8: D28A001B 00010A15
	v_readlane_b32 s22, v37, 0                                 // 0000000037B0: D2890016 00010125
	v_writelane_b32 v28, s22, 5                                // 0000000037B8: D28A001C 00010A16
	s_mov_b32 s22, s36                                         // 0000000037C0: BE960024
	s_cmp_eq_u32 s36, -1                                       // 0000000037C4: BF06C124
	s_cselect_b32 s21, 1, 0                                    // 0000000037C8: 85158081
	s_cbranch_scc0 label_06FA                                  // 0000000037CC: BF840006
	s_add_u32 s53, s21, s53                                    // 0000000037D0: 80353515
	s_mov_b32 s22, s37                                         // 0000000037D4: BE960025
	s_cmp_eq_u32 s37, -1                                       // 0000000037D8: BF06C125
	s_cselect_b32 s21, 1, 0                                    // 0000000037DC: 85158081
	s_cbranch_scc0 label_06FA                                  // 0000000037E0: BF840001
	s_add_u32 s53, s21, s53                                    // 0000000037E4: 80353515

00000000000037e8 <label_06FA>:
	s_set_gpr_idx_on s53, gpr_idx(DST)                         // 0000000037E8: BF110835
	v_writelane_b32 v17, 0, s22                                // 0000000037EC: D28A0011 00002C80
	s_set_gpr_idx_off                                          // 0000000037F4: BF9C0000
	s_mul_i32 s53, 64, s53                                     // 0000000037F8: 923535C0
	s_add_u32 s53, s22, s53                                    // 0000000037FC: 80353516
	v_writelane_b32 v23, s53, 5                                // 000000003800: D28A0017 00010A35
	s_mov_b32 s22, s38                                         // 000000003808: BE960026
	s_cmp_eq_u32 s38, -1                                       // 00000000380C: BF06C126
	s_cselect_b32 s21, 1, 0                                    // 000000003810: 85158081
	s_cbranch_scc0 label_070C                                  // 000000003814: BF840006
	s_add_u32 s59, s21, s59                                    // 000000003818: 803B3B15
	s_mov_b32 s22, s39                                         // 00000000381C: BE960027
	s_cmp_eq_u32 s39, -1                                       // 000000003820: BF06C127
	s_cselect_b32 s21, 1, 0                                    // 000000003824: 85158081
	s_cbranch_scc0 label_070C                                  // 000000003828: BF840001
	s_add_u32 s59, s21, s59                                    // 00000000382C: 803B3B15

0000000000003830 <label_070C>:
	s_set_gpr_idx_on s59, gpr_idx(DST)                         // 000000003830: BF11083B
	v_writelane_b32 v19, 0, s22                                // 000000003834: D28A0013 00002C80
	s_set_gpr_idx_off                                          // 00000000383C: BF9C0000
	s_mul_i32 s59, 64, s59                                     // 000000003840: 923B3BC0
	s_add_u32 s59, s22, s59                                    // 000000003844: 803B3B16
	v_writelane_b32 v24, s59, 5                                // 000000003848: D28A0018 00010A3B
	s_mov_b32 s22, s40                                         // 000000003850: BE960028
	s_cmp_eq_u32 s40, -1                                       // 000000003854: BF06C128
	s_cselect_b32 s21, 1, 0                                    // 000000003858: 85158081
	s_cbranch_scc0 label_071E                                  // 00000000385C: BF840006
	s_add_u32 s65, s21, s65                                    // 000000003860: 80414115
	s_mov_b32 s22, s41                                         // 000000003864: BE960029
	s_cmp_eq_u32 s41, -1                                       // 000000003868: BF06C129
	s_cselect_b32 s21, 1, 0                                    // 00000000386C: 85158081
	s_cbranch_scc0 label_071E                                  // 000000003870: BF840001
	s_add_u32 s65, s21, s65                                    // 000000003874: 80414115

0000000000003878 <label_071E>:
	s_set_gpr_idx_on s65, gpr_idx(DST)                         // 000000003878: BF110841
	v_writelane_b32 v21, 0, s22                                // 00000000387C: D28A0015 00002C80
	s_set_gpr_idx_off                                          // 000000003884: BF9C0000
	s_mul_i32 s65, 64, s65                                     // 000000003888: 924141C0
	s_add_u32 s65, s22, s65                                    // 00000000388C: 80414116
	v_writelane_b32 v25, s65, 5                                // 000000003890: D28A0019 00010A41
	s_bfm_b64 exec, s18, 0                                     // 000000003898: 91FE8012
	buffer_store_dword v23, v11, s[4:7], 0 offen               // 00000000389C: E0701000 8001170B
	buffer_store_dword v24, v12, s[4:7], 0 offen               // 0000000038A4: E0701000 8001180C
	buffer_store_dword v25, v13, s[4:7], 0 offen               // 0000000038AC: E0701000 8001190D
	v_rcp_f32_e32 v41, v41                                     // 0000000038B4: 7E524529
	v_rcp_f32_e32 v42, v42                                     // 0000000038B8: 7E54452A
	v_rcp_f32_e32 v43, v43                                     // 0000000038BC: 7E56452B
	v_mul_f32_e32 v26, v26, v41                                // 0000000038C0: 0A34531A
	v_mul_f32_e32 v27, v27, v42                                // 0000000038C4: 0A36551B
	v_mul_f32_e32 v28, v28, v43                                // 0000000038C8: 0A38571C
	buffer_store_dword v26, v14, s[8:11], 0 offen              // 0000000038CC: E0701000 80021A0E
	buffer_store_dword v27, v15, s[8:11], 0 offen              // 0000000038D4: E0701000 80021B0F
	buffer_store_dword v28, v16, s[8:11], 0 offen              // 0000000038DC: E0701000 80021C10

00000000000038e4 <label_0739>:
	s_waitcnt vmcnt(0) expcnt(0) lgkmcnt(0)                    // 0000000038E4: BF8C0000
	s_endpgm                                                   // 0000000038E8: BF810000
